;; amdgpu-corpus repo=LLNL/RAJAPerf kind=compiled arch=gfx1250 opt=O3
	.amdgcn_target "amdgcn-amd-amdhsa--gfx1250"
	.amdhsa_code_object_version 6
	.section	.text._ZN8rajaperf4apps13ltimes_noviewILm32ELm4ELm2EEEvPdS2_S2_llll,"axG",@progbits,_ZN8rajaperf4apps13ltimes_noviewILm32ELm4ELm2EEEvPdS2_S2_llll,comdat
	.protected	_ZN8rajaperf4apps13ltimes_noviewILm32ELm4ELm2EEEvPdS2_S2_llll ; -- Begin function _ZN8rajaperf4apps13ltimes_noviewILm32ELm4ELm2EEEvPdS2_S2_llll
	.globl	_ZN8rajaperf4apps13ltimes_noviewILm32ELm4ELm2EEEvPdS2_S2_llll
	.p2align	8
	.type	_ZN8rajaperf4apps13ltimes_noviewILm32ELm4ELm2EEEvPdS2_S2_llll,@function
_ZN8rajaperf4apps13ltimes_noviewILm32ELm4ELm2EEEvPdS2_S2_llll: ; @_ZN8rajaperf4apps13ltimes_noviewILm32ELm4ELm2EEEvPdS2_S2_llll
; %bb.0:
	s_bfe_u32 s2, ttmp6, 0x40010
	s_and_b32 s3, ttmp7, 0xffff
	s_add_co_i32 s2, s2, 1
	s_bfe_u32 s4, ttmp6, 0x40004
	s_mul_i32 s2, s3, s2
	s_getreg_b32 s5, hwreg(HW_REG_IB_STS2, 6, 4)
	s_add_co_i32 s4, s4, s2
	s_cmp_eq_u32 s5, 0
	s_load_b256 s[12:19], s[0:1], 0x20
	s_cselect_b32 s20, s3, s4
	s_bfe_u32 s2, ttmp6, 0x40014
	s_lshr_b32 s3, ttmp7, 16
	s_add_co_i32 s2, s2, 1
	s_bfe_u32 s4, ttmp6, 0x40008
	s_mul_i32 s2, s3, s2
	v_and_b32_e32 v6, 0x3ff, v0
	s_add_co_i32 s4, s4, s2
	s_cmp_eq_u32 s5, 0
	v_mov_b32_e32 v7, 0
	s_cselect_b32 s21, s3, s4
	s_bfe_u32 s2, ttmp6, 0x4000c
	s_and_b32 s4, ttmp6, 15
	s_add_co_i32 s2, s2, 1
	s_mov_b32 s3, 0
	s_mul_i32 s2, ttmp9, s2
	s_delay_alu instid0(SALU_CYCLE_1)
	s_add_co_i32 s4, s4, s2
	s_cmp_eq_u32 s5, 0
	s_cselect_b32 s2, ttmp9, s4
	s_load_b256 s[4:11], s[0:1], 0x0
	s_wait_kmcnt 0x0
	s_lshl_b64 s[18:19], s[2:3], 5
	s_lshl_b32 s2, s20, 2
	v_add_nc_u64_e32 v[2:3], s[18:19], v[6:7]
	v_bfe_u32 v6, v0, 10, 10
	s_delay_alu instid0(VALU_DEP_1) | instskip(SKIP_2) | instid1(VALU_DEP_4)
	v_add_nc_u64_e32 v[4:5], s[2:3], v[6:7]
	v_bfe_u32 v6, v0, 20, 10
	s_lshl_b32 s2, s21, 1
	v_cmp_gt_i64_e32 vcc_lo, s[12:13], v[2:3]
	s_delay_alu instid0(VALU_DEP_2) | instskip(NEXT) | instid1(VALU_DEP_4)
	v_add_nc_u64_e32 v[0:1], s[2:3], v[6:7]
	v_cmp_gt_i64_e64 s0, s[14:15], v[4:5]
	v_cmp_gt_i64_e64 s2, s[10:11], 0
	s_delay_alu instid0(VALU_DEP_3) | instskip(SKIP_1) | instid1(SALU_CYCLE_1)
	v_cmp_gt_i64_e64 s1, s[16:17], v[0:1]
	s_and_b32 s0, vcc_lo, s0
	s_and_b32 s0, s0, s1
	s_delay_alu instid0(SALU_CYCLE_1) | instskip(NEXT) | instid1(SALU_CYCLE_1)
	s_and_b32 s0, s0, s2
	s_and_saveexec_b32 s1, s0
	s_cbranch_execz .LBB0_3
; %bb.1:
	v_mul_u64_e32 v[6:7], s[12:13], v[4:5]
	s_mul_u64 s[0:1], s[14:15], s[12:13]
	v_lshl_add_u64 v[10:11], v[2:3], 3, s[4:5]
	v_mul_u64_e32 v[8:9], s[0:1], v[0:1]
	v_mul_u64_e32 v[4:5], s[10:11], v[4:5]
	s_mul_u64 s[0:1], s[14:15], s[10:11]
	v_mul_u64_e32 v[2:3], s[10:11], v[2:3]
	v_lshl_add_u64 v[6:7], v[6:7], 3, v[10:11]
	v_mul_u64_e32 v[10:11], s[0:1], v[0:1]
	s_delay_alu instid0(VALU_DEP_4) | instskip(NEXT) | instid1(VALU_DEP_3)
	v_lshl_add_u64 v[4:5], v[4:5], 3, s[8:9]
	v_lshl_add_u64 v[6:7], v[8:9], 3, v[6:7]
	;; [unrolled: 1-line block ×3, first 2 shown]
	global_load_b64 v[8:9], v[6:7], off
	v_lshl_add_u64 v[2:3], v[10:11], 3, v[4:5]
.LBB0_2:                                ; =>This Inner Loop Header: Depth=1
	global_load_b64 v[4:5], v[0:1], off
	global_load_b64 v[10:11], v[2:3], off
	s_wait_xcnt 0x0
	v_add_nc_u64_e32 v[2:3], 8, v[2:3]
	v_add_nc_u64_e32 v[0:1], 8, v[0:1]
	s_add_nc_u64 s[10:11], s[10:11], -1
	s_delay_alu instid0(SALU_CYCLE_1)
	s_cmp_lg_u64 s[10:11], 0
	s_wait_loadcnt 0x0
	v_fmac_f64_e32 v[8:9], v[4:5], v[10:11]
	global_store_b64 v[6:7], v[8:9], off
	s_cbranch_scc1 .LBB0_2
.LBB0_3:
	s_endpgm
	.section	.rodata,"a",@progbits
	.p2align	6, 0x0
	.amdhsa_kernel _ZN8rajaperf4apps13ltimes_noviewILm32ELm4ELm2EEEvPdS2_S2_llll
		.amdhsa_group_segment_fixed_size 0
		.amdhsa_private_segment_fixed_size 0
		.amdhsa_kernarg_size 56
		.amdhsa_user_sgpr_count 2
		.amdhsa_user_sgpr_dispatch_ptr 0
		.amdhsa_user_sgpr_queue_ptr 0
		.amdhsa_user_sgpr_kernarg_segment_ptr 1
		.amdhsa_user_sgpr_dispatch_id 0
		.amdhsa_user_sgpr_kernarg_preload_length 0
		.amdhsa_user_sgpr_kernarg_preload_offset 0
		.amdhsa_user_sgpr_private_segment_size 0
		.amdhsa_wavefront_size32 1
		.amdhsa_uses_dynamic_stack 0
		.amdhsa_enable_private_segment 0
		.amdhsa_system_sgpr_workgroup_id_x 1
		.amdhsa_system_sgpr_workgroup_id_y 1
		.amdhsa_system_sgpr_workgroup_id_z 1
		.amdhsa_system_sgpr_workgroup_info 0
		.amdhsa_system_vgpr_workitem_id 2
		.amdhsa_next_free_vgpr 12
		.amdhsa_next_free_sgpr 22
		.amdhsa_named_barrier_count 0
		.amdhsa_reserve_vcc 1
		.amdhsa_float_round_mode_32 0
		.amdhsa_float_round_mode_16_64 0
		.amdhsa_float_denorm_mode_32 3
		.amdhsa_float_denorm_mode_16_64 3
		.amdhsa_fp16_overflow 0
		.amdhsa_memory_ordered 1
		.amdhsa_forward_progress 1
		.amdhsa_inst_pref_size 4
		.amdhsa_round_robin_scheduling 0
		.amdhsa_exception_fp_ieee_invalid_op 0
		.amdhsa_exception_fp_denorm_src 0
		.amdhsa_exception_fp_ieee_div_zero 0
		.amdhsa_exception_fp_ieee_overflow 0
		.amdhsa_exception_fp_ieee_underflow 0
		.amdhsa_exception_fp_ieee_inexact 0
		.amdhsa_exception_int_div_zero 0
	.end_amdhsa_kernel
	.section	.text._ZN8rajaperf4apps13ltimes_noviewILm32ELm4ELm2EEEvPdS2_S2_llll,"axG",@progbits,_ZN8rajaperf4apps13ltimes_noviewILm32ELm4ELm2EEEvPdS2_S2_llll,comdat
.Lfunc_end0:
	.size	_ZN8rajaperf4apps13ltimes_noviewILm32ELm4ELm2EEEvPdS2_S2_llll, .Lfunc_end0-_ZN8rajaperf4apps13ltimes_noviewILm32ELm4ELm2EEEvPdS2_S2_llll
                                        ; -- End function
	.set _ZN8rajaperf4apps13ltimes_noviewILm32ELm4ELm2EEEvPdS2_S2_llll.num_vgpr, 12
	.set _ZN8rajaperf4apps13ltimes_noviewILm32ELm4ELm2EEEvPdS2_S2_llll.num_agpr, 0
	.set _ZN8rajaperf4apps13ltimes_noviewILm32ELm4ELm2EEEvPdS2_S2_llll.numbered_sgpr, 22
	.set _ZN8rajaperf4apps13ltimes_noviewILm32ELm4ELm2EEEvPdS2_S2_llll.num_named_barrier, 0
	.set _ZN8rajaperf4apps13ltimes_noviewILm32ELm4ELm2EEEvPdS2_S2_llll.private_seg_size, 0
	.set _ZN8rajaperf4apps13ltimes_noviewILm32ELm4ELm2EEEvPdS2_S2_llll.uses_vcc, 1
	.set _ZN8rajaperf4apps13ltimes_noviewILm32ELm4ELm2EEEvPdS2_S2_llll.uses_flat_scratch, 0
	.set _ZN8rajaperf4apps13ltimes_noviewILm32ELm4ELm2EEEvPdS2_S2_llll.has_dyn_sized_stack, 0
	.set _ZN8rajaperf4apps13ltimes_noviewILm32ELm4ELm2EEEvPdS2_S2_llll.has_recursion, 0
	.set _ZN8rajaperf4apps13ltimes_noviewILm32ELm4ELm2EEEvPdS2_S2_llll.has_indirect_call, 0
	.section	.AMDGPU.csdata,"",@progbits
; Kernel info:
; codeLenInByte = 432
; TotalNumSgprs: 24
; NumVgprs: 12
; ScratchSize: 0
; MemoryBound: 0
; FloatMode: 240
; IeeeMode: 1
; LDSByteSize: 0 bytes/workgroup (compile time only)
; SGPRBlocks: 0
; VGPRBlocks: 0
; NumSGPRsForWavesPerEU: 24
; NumVGPRsForWavesPerEU: 12
; NamedBarCnt: 0
; Occupancy: 16
; WaveLimiterHint : 0
; COMPUTE_PGM_RSRC2:SCRATCH_EN: 0
; COMPUTE_PGM_RSRC2:USER_SGPR: 2
; COMPUTE_PGM_RSRC2:TRAP_HANDLER: 0
; COMPUTE_PGM_RSRC2:TGID_X_EN: 1
; COMPUTE_PGM_RSRC2:TGID_Y_EN: 1
; COMPUTE_PGM_RSRC2:TGID_Z_EN: 1
; COMPUTE_PGM_RSRC2:TIDIG_COMP_CNT: 2
	.section	.text._ZN8rajaperf4apps17ltimes_noview_lamILm32ELm4ELm2EZNS0_13LTIMES_NOVIEW17runHipVariantImplILm256ELm0EEEvNS_9VariantIDEEUllllE_EEvlllT2_,"axG",@progbits,_ZN8rajaperf4apps17ltimes_noview_lamILm32ELm4ELm2EZNS0_13LTIMES_NOVIEW17runHipVariantImplILm256ELm0EEEvNS_9VariantIDEEUllllE_EEvlllT2_,comdat
	.protected	_ZN8rajaperf4apps17ltimes_noview_lamILm32ELm4ELm2EZNS0_13LTIMES_NOVIEW17runHipVariantImplILm256ELm0EEEvNS_9VariantIDEEUllllE_EEvlllT2_ ; -- Begin function _ZN8rajaperf4apps17ltimes_noview_lamILm32ELm4ELm2EZNS0_13LTIMES_NOVIEW17runHipVariantImplILm256ELm0EEEvNS_9VariantIDEEUllllE_EEvlllT2_
	.globl	_ZN8rajaperf4apps17ltimes_noview_lamILm32ELm4ELm2EZNS0_13LTIMES_NOVIEW17runHipVariantImplILm256ELm0EEEvNS_9VariantIDEEUllllE_EEvlllT2_
	.p2align	8
	.type	_ZN8rajaperf4apps17ltimes_noview_lamILm32ELm4ELm2EZNS0_13LTIMES_NOVIEW17runHipVariantImplILm256ELm0EEEvNS_9VariantIDEEUllllE_EEvlllT2_,@function
_ZN8rajaperf4apps17ltimes_noview_lamILm32ELm4ELm2EZNS0_13LTIMES_NOVIEW17runHipVariantImplILm256ELm0EEEvNS_9VariantIDEEUllllE_EEvlllT2_: ; @_ZN8rajaperf4apps17ltimes_noview_lamILm32ELm4ELm2EZNS0_13LTIMES_NOVIEW17runHipVariantImplILm256ELm0EEEvNS_9VariantIDEEUllllE_EEvlllT2_
; %bb.0:
	s_bfe_u32 s2, ttmp6, 0x40010
	s_and_b32 s3, ttmp7, 0xffff
	s_add_co_i32 s2, s2, 1
	s_bfe_u32 s4, ttmp6, 0x40004
	s_mul_i32 s2, s3, s2
	s_getreg_b32 s5, hwreg(HW_REG_IB_STS2, 6, 4)
	s_add_co_i32 s4, s4, s2
	s_cmp_eq_u32 s5, 0
	v_and_b32_e32 v6, 0x3ff, v0
	s_cselect_b32 s14, s3, s4
	s_bfe_u32 s2, ttmp6, 0x40014
	s_lshr_b32 s3, ttmp7, 16
	s_add_co_i32 s2, s2, 1
	s_bfe_u32 s4, ttmp6, 0x40008
	s_mul_i32 s2, s3, s2
	v_mov_b32_e32 v7, 0
	s_add_co_i32 s4, s4, s2
	s_cmp_eq_u32 s5, 0
	s_cselect_b32 s15, s3, s4
	s_bfe_u32 s2, ttmp6, 0x4000c
	s_and_b32 s4, ttmp6, 15
	s_add_co_i32 s2, s2, 1
	s_mov_b32 s3, 0
	s_mul_i32 s2, ttmp9, s2
	s_delay_alu instid0(SALU_CYCLE_1) | instskip(SKIP_3) | instid1(SALU_CYCLE_1)
	s_add_co_i32 s2, s4, s2
	s_cmp_eq_u32 s5, 0
	s_load_b256 s[4:11], s[0:1], 0x0
	s_cselect_b32 s2, ttmp9, s2
	s_lshl_b64 s[12:13], s[2:3], 5
	s_lshl_b32 s2, s14, 2
	v_add_nc_u64_e32 v[2:3], s[12:13], v[6:7]
	v_bfe_u32 v6, v0, 10, 10
	s_delay_alu instid0(VALU_DEP_1)
	v_add_nc_u64_e32 v[4:5], s[2:3], v[6:7]
	v_bfe_u32 v6, v0, 20, 10
	s_lshl_b32 s2, s15, 1
	s_delay_alu instid0(VALU_DEP_1) | instid1(SALU_CYCLE_1)
	v_add_nc_u64_e32 v[0:1], s[2:3], v[6:7]
	s_wait_kmcnt 0x0
	v_cmp_gt_i64_e32 vcc_lo, s[4:5], v[2:3]
	s_delay_alu instid0(VALU_DEP_4) | instskip(SKIP_1) | instid1(VALU_DEP_4)
	v_cmp_gt_i64_e64 s2, s[6:7], v[4:5]
	v_cmp_gt_i64_e64 s4, s[10:11], 0
	;; [unrolled: 1-line block ×3, first 2 shown]
	s_and_b32 s2, vcc_lo, s2
	s_delay_alu instid0(SALU_CYCLE_1) | instskip(NEXT) | instid1(SALU_CYCLE_1)
	s_and_b32 s2, s2, s3
	s_and_b32 s2, s2, s4
	s_delay_alu instid0(SALU_CYCLE_1)
	s_and_saveexec_b32 s3, s2
	s_cbranch_execz .LBB1_3
; %bb.1:
	s_load_b256 s[12:19], s[0:1], 0x20
	s_wait_kmcnt 0x0
	v_mul_u64_e32 v[6:7], s[16:17], v[0:1]
	v_mul_u64_e32 v[8:9], s[14:15], v[4:5]
	v_lshl_add_u64 v[10:11], v[2:3], 3, s[12:13]
	v_mul_u64_e32 v[0:1], s[10:11], v[0:1]
	v_mul_u64_e32 v[4:5], s[10:11], v[4:5]
	;; [unrolled: 1-line block ×3, first 2 shown]
	s_load_b64 s[0:1], s[0:1], 0x40
	v_mul_u64_e32 v[6:7], s[14:15], v[6:7]
	v_lshl_add_u64 v[8:9], v[8:9], 3, v[10:11]
	v_mul_u64_e32 v[10:11], s[16:17], v[0:1]
	s_wait_kmcnt 0x0
	v_lshl_add_u64 v[4:5], v[4:5], 3, s[0:1]
	v_lshl_add_u64 v[0:1], v[2:3], 3, s[18:19]
	;; [unrolled: 1-line block ×3, first 2 shown]
	s_delay_alu instid0(VALU_DEP_3)
	v_lshl_add_u64 v[2:3], v[10:11], 3, v[4:5]
	global_load_b64 v[8:9], v[6:7], off
.LBB1_2:                                ; =>This Inner Loop Header: Depth=1
	global_load_b64 v[4:5], v[0:1], off
	global_load_b64 v[10:11], v[2:3], off
	s_wait_xcnt 0x1
	v_add_nc_u64_e32 v[0:1], 8, v[0:1]
	s_wait_xcnt 0x0
	v_add_nc_u64_e32 v[2:3], 8, v[2:3]
	s_add_nc_u64 s[10:11], s[10:11], -1
	s_delay_alu instid0(SALU_CYCLE_1)
	s_cmp_lg_u64 s[10:11], 0
	s_wait_loadcnt 0x0
	v_fmac_f64_e32 v[8:9], v[4:5], v[10:11]
	global_store_b64 v[6:7], v[8:9], off
	s_cbranch_scc1 .LBB1_2
.LBB1_3:
	s_endpgm
	.section	.rodata,"a",@progbits
	.p2align	6, 0x0
	.amdhsa_kernel _ZN8rajaperf4apps17ltimes_noview_lamILm32ELm4ELm2EZNS0_13LTIMES_NOVIEW17runHipVariantImplILm256ELm0EEEvNS_9VariantIDEEUllllE_EEvlllT2_
		.amdhsa_group_segment_fixed_size 0
		.amdhsa_private_segment_fixed_size 0
		.amdhsa_kernarg_size 72
		.amdhsa_user_sgpr_count 2
		.amdhsa_user_sgpr_dispatch_ptr 0
		.amdhsa_user_sgpr_queue_ptr 0
		.amdhsa_user_sgpr_kernarg_segment_ptr 1
		.amdhsa_user_sgpr_dispatch_id 0
		.amdhsa_user_sgpr_kernarg_preload_length 0
		.amdhsa_user_sgpr_kernarg_preload_offset 0
		.amdhsa_user_sgpr_private_segment_size 0
		.amdhsa_wavefront_size32 1
		.amdhsa_uses_dynamic_stack 0
		.amdhsa_enable_private_segment 0
		.amdhsa_system_sgpr_workgroup_id_x 1
		.amdhsa_system_sgpr_workgroup_id_y 1
		.amdhsa_system_sgpr_workgroup_id_z 1
		.amdhsa_system_sgpr_workgroup_info 0
		.amdhsa_system_vgpr_workitem_id 2
		.amdhsa_next_free_vgpr 12
		.amdhsa_next_free_sgpr 20
		.amdhsa_named_barrier_count 0
		.amdhsa_reserve_vcc 1
		.amdhsa_float_round_mode_32 0
		.amdhsa_float_round_mode_16_64 0
		.amdhsa_float_denorm_mode_32 3
		.amdhsa_float_denorm_mode_16_64 3
		.amdhsa_fp16_overflow 0
		.amdhsa_memory_ordered 1
		.amdhsa_forward_progress 1
		.amdhsa_inst_pref_size 4
		.amdhsa_round_robin_scheduling 0
		.amdhsa_exception_fp_ieee_invalid_op 0
		.amdhsa_exception_fp_denorm_src 0
		.amdhsa_exception_fp_ieee_div_zero 0
		.amdhsa_exception_fp_ieee_overflow 0
		.amdhsa_exception_fp_ieee_underflow 0
		.amdhsa_exception_fp_ieee_inexact 0
		.amdhsa_exception_int_div_zero 0
	.end_amdhsa_kernel
	.section	.text._ZN8rajaperf4apps17ltimes_noview_lamILm32ELm4ELm2EZNS0_13LTIMES_NOVIEW17runHipVariantImplILm256ELm0EEEvNS_9VariantIDEEUllllE_EEvlllT2_,"axG",@progbits,_ZN8rajaperf4apps17ltimes_noview_lamILm32ELm4ELm2EZNS0_13LTIMES_NOVIEW17runHipVariantImplILm256ELm0EEEvNS_9VariantIDEEUllllE_EEvlllT2_,comdat
.Lfunc_end1:
	.size	_ZN8rajaperf4apps17ltimes_noview_lamILm32ELm4ELm2EZNS0_13LTIMES_NOVIEW17runHipVariantImplILm256ELm0EEEvNS_9VariantIDEEUllllE_EEvlllT2_, .Lfunc_end1-_ZN8rajaperf4apps17ltimes_noview_lamILm32ELm4ELm2EZNS0_13LTIMES_NOVIEW17runHipVariantImplILm256ELm0EEEvNS_9VariantIDEEUllllE_EEvlllT2_
                                        ; -- End function
	.set _ZN8rajaperf4apps17ltimes_noview_lamILm32ELm4ELm2EZNS0_13LTIMES_NOVIEW17runHipVariantImplILm256ELm0EEEvNS_9VariantIDEEUllllE_EEvlllT2_.num_vgpr, 12
	.set _ZN8rajaperf4apps17ltimes_noview_lamILm32ELm4ELm2EZNS0_13LTIMES_NOVIEW17runHipVariantImplILm256ELm0EEEvNS_9VariantIDEEUllllE_EEvlllT2_.num_agpr, 0
	.set _ZN8rajaperf4apps17ltimes_noview_lamILm32ELm4ELm2EZNS0_13LTIMES_NOVIEW17runHipVariantImplILm256ELm0EEEvNS_9VariantIDEEUllllE_EEvlllT2_.numbered_sgpr, 20
	.set _ZN8rajaperf4apps17ltimes_noview_lamILm32ELm4ELm2EZNS0_13LTIMES_NOVIEW17runHipVariantImplILm256ELm0EEEvNS_9VariantIDEEUllllE_EEvlllT2_.num_named_barrier, 0
	.set _ZN8rajaperf4apps17ltimes_noview_lamILm32ELm4ELm2EZNS0_13LTIMES_NOVIEW17runHipVariantImplILm256ELm0EEEvNS_9VariantIDEEUllllE_EEvlllT2_.private_seg_size, 0
	.set _ZN8rajaperf4apps17ltimes_noview_lamILm32ELm4ELm2EZNS0_13LTIMES_NOVIEW17runHipVariantImplILm256ELm0EEEvNS_9VariantIDEEUllllE_EEvlllT2_.uses_vcc, 1
	.set _ZN8rajaperf4apps17ltimes_noview_lamILm32ELm4ELm2EZNS0_13LTIMES_NOVIEW17runHipVariantImplILm256ELm0EEEvNS_9VariantIDEEUllllE_EEvlllT2_.uses_flat_scratch, 0
	.set _ZN8rajaperf4apps17ltimes_noview_lamILm32ELm4ELm2EZNS0_13LTIMES_NOVIEW17runHipVariantImplILm256ELm0EEEvNS_9VariantIDEEUllllE_EEvlllT2_.has_dyn_sized_stack, 0
	.set _ZN8rajaperf4apps17ltimes_noview_lamILm32ELm4ELm2EZNS0_13LTIMES_NOVIEW17runHipVariantImplILm256ELm0EEEvNS_9VariantIDEEUllllE_EEvlllT2_.has_recursion, 0
	.set _ZN8rajaperf4apps17ltimes_noview_lamILm32ELm4ELm2EZNS0_13LTIMES_NOVIEW17runHipVariantImplILm256ELm0EEEvNS_9VariantIDEEUllllE_EEvlllT2_.has_indirect_call, 0
	.section	.AMDGPU.csdata,"",@progbits
; Kernel info:
; codeLenInByte = 456
; TotalNumSgprs: 22
; NumVgprs: 12
; ScratchSize: 0
; MemoryBound: 0
; FloatMode: 240
; IeeeMode: 1
; LDSByteSize: 0 bytes/workgroup (compile time only)
; SGPRBlocks: 0
; VGPRBlocks: 0
; NumSGPRsForWavesPerEU: 22
; NumVGPRsForWavesPerEU: 12
; NamedBarCnt: 0
; Occupancy: 16
; WaveLimiterHint : 0
; COMPUTE_PGM_RSRC2:SCRATCH_EN: 0
; COMPUTE_PGM_RSRC2:USER_SGPR: 2
; COMPUTE_PGM_RSRC2:TRAP_HANDLER: 0
; COMPUTE_PGM_RSRC2:TGID_X_EN: 1
; COMPUTE_PGM_RSRC2:TGID_Y_EN: 1
; COMPUTE_PGM_RSRC2:TGID_Z_EN: 1
; COMPUTE_PGM_RSRC2:TIDIG_COMP_CNT: 2
	.section	.text._ZN4RAJA8internal22HipKernelLauncherFixedILi256ENS0_8LoopDataIN4camp5tupleIJNS_4SpanINS_9Iterators16numeric_iteratorIllPlEElEESA_SA_SA_EEENS4_IJEEENS3_9resources2v13HipEJZN8rajaperf4apps13LTIMES_NOVIEW17runHipVariantImplILm256ELm0EEEvNSG_9VariantIDEEUlllllE_EEENS0_24HipStatementListExecutorISM_NS3_4listIJNS_9statement3ForILl1ENS_6policy3hip11hip_indexerINS_17iteration_mapping6DirectELNS_23kernel_sync_requirementE0EJNS_3hip11IndexGlobalILNS_9named_dimE2ELi2ELi0EEEEEEJNSQ_ILl2ENST_ISV_LSW_0EJNSY_ILSZ_1ELi4ELi0EEEEEEJNSQ_ILl3ENST_ISV_LSW_0EJNSY_ILSZ_0ELi32ELi0EEEEEEJNSQ_ILl0ENSR_10sequential8seq_execEJNSP_6LambdaILl0EJEEEEEEEEEEEEEEEEEENS0_9LoopTypesINSO_IJvvvvEEES1G_EEEEEEvT0_,"axG",@progbits,_ZN4RAJA8internal22HipKernelLauncherFixedILi256ENS0_8LoopDataIN4camp5tupleIJNS_4SpanINS_9Iterators16numeric_iteratorIllPlEElEESA_SA_SA_EEENS4_IJEEENS3_9resources2v13HipEJZN8rajaperf4apps13LTIMES_NOVIEW17runHipVariantImplILm256ELm0EEEvNSG_9VariantIDEEUlllllE_EEENS0_24HipStatementListExecutorISM_NS3_4listIJNS_9statement3ForILl1ENS_6policy3hip11hip_indexerINS_17iteration_mapping6DirectELNS_23kernel_sync_requirementE0EJNS_3hip11IndexGlobalILNS_9named_dimE2ELi2ELi0EEEEEEJNSQ_ILl2ENST_ISV_LSW_0EJNSY_ILSZ_1ELi4ELi0EEEEEEJNSQ_ILl3ENST_ISV_LSW_0EJNSY_ILSZ_0ELi32ELi0EEEEEEJNSQ_ILl0ENSR_10sequential8seq_execEJNSP_6LambdaILl0EJEEEEEEEEEEEEEEEEEENS0_9LoopTypesINSO_IJvvvvEEES1G_EEEEEEvT0_,comdat
	.protected	_ZN4RAJA8internal22HipKernelLauncherFixedILi256ENS0_8LoopDataIN4camp5tupleIJNS_4SpanINS_9Iterators16numeric_iteratorIllPlEElEESA_SA_SA_EEENS4_IJEEENS3_9resources2v13HipEJZN8rajaperf4apps13LTIMES_NOVIEW17runHipVariantImplILm256ELm0EEEvNSG_9VariantIDEEUlllllE_EEENS0_24HipStatementListExecutorISM_NS3_4listIJNS_9statement3ForILl1ENS_6policy3hip11hip_indexerINS_17iteration_mapping6DirectELNS_23kernel_sync_requirementE0EJNS_3hip11IndexGlobalILNS_9named_dimE2ELi2ELi0EEEEEEJNSQ_ILl2ENST_ISV_LSW_0EJNSY_ILSZ_1ELi4ELi0EEEEEEJNSQ_ILl3ENST_ISV_LSW_0EJNSY_ILSZ_0ELi32ELi0EEEEEEJNSQ_ILl0ENSR_10sequential8seq_execEJNSP_6LambdaILl0EJEEEEEEEEEEEEEEEEEENS0_9LoopTypesINSO_IJvvvvEEES1G_EEEEEEvT0_ ; -- Begin function _ZN4RAJA8internal22HipKernelLauncherFixedILi256ENS0_8LoopDataIN4camp5tupleIJNS_4SpanINS_9Iterators16numeric_iteratorIllPlEElEESA_SA_SA_EEENS4_IJEEENS3_9resources2v13HipEJZN8rajaperf4apps13LTIMES_NOVIEW17runHipVariantImplILm256ELm0EEEvNSG_9VariantIDEEUlllllE_EEENS0_24HipStatementListExecutorISM_NS3_4listIJNS_9statement3ForILl1ENS_6policy3hip11hip_indexerINS_17iteration_mapping6DirectELNS_23kernel_sync_requirementE0EJNS_3hip11IndexGlobalILNS_9named_dimE2ELi2ELi0EEEEEEJNSQ_ILl2ENST_ISV_LSW_0EJNSY_ILSZ_1ELi4ELi0EEEEEEJNSQ_ILl3ENST_ISV_LSW_0EJNSY_ILSZ_0ELi32ELi0EEEEEEJNSQ_ILl0ENSR_10sequential8seq_execEJNSP_6LambdaILl0EJEEEEEEEEEEEEEEEEEENS0_9LoopTypesINSO_IJvvvvEEES1G_EEEEEEvT0_
	.globl	_ZN4RAJA8internal22HipKernelLauncherFixedILi256ENS0_8LoopDataIN4camp5tupleIJNS_4SpanINS_9Iterators16numeric_iteratorIllPlEElEESA_SA_SA_EEENS4_IJEEENS3_9resources2v13HipEJZN8rajaperf4apps13LTIMES_NOVIEW17runHipVariantImplILm256ELm0EEEvNSG_9VariantIDEEUlllllE_EEENS0_24HipStatementListExecutorISM_NS3_4listIJNS_9statement3ForILl1ENS_6policy3hip11hip_indexerINS_17iteration_mapping6DirectELNS_23kernel_sync_requirementE0EJNS_3hip11IndexGlobalILNS_9named_dimE2ELi2ELi0EEEEEEJNSQ_ILl2ENST_ISV_LSW_0EJNSY_ILSZ_1ELi4ELi0EEEEEEJNSQ_ILl3ENST_ISV_LSW_0EJNSY_ILSZ_0ELi32ELi0EEEEEEJNSQ_ILl0ENSR_10sequential8seq_execEJNSP_6LambdaILl0EJEEEEEEEEEEEEEEEEEENS0_9LoopTypesINSO_IJvvvvEEES1G_EEEEEEvT0_
	.p2align	8
	.type	_ZN4RAJA8internal22HipKernelLauncherFixedILi256ENS0_8LoopDataIN4camp5tupleIJNS_4SpanINS_9Iterators16numeric_iteratorIllPlEElEESA_SA_SA_EEENS4_IJEEENS3_9resources2v13HipEJZN8rajaperf4apps13LTIMES_NOVIEW17runHipVariantImplILm256ELm0EEEvNSG_9VariantIDEEUlllllE_EEENS0_24HipStatementListExecutorISM_NS3_4listIJNS_9statement3ForILl1ENS_6policy3hip11hip_indexerINS_17iteration_mapping6DirectELNS_23kernel_sync_requirementE0EJNS_3hip11IndexGlobalILNS_9named_dimE2ELi2ELi0EEEEEEJNSQ_ILl2ENST_ISV_LSW_0EJNSY_ILSZ_1ELi4ELi0EEEEEEJNSQ_ILl3ENST_ISV_LSW_0EJNSY_ILSZ_0ELi32ELi0EEEEEEJNSQ_ILl0ENSR_10sequential8seq_execEJNSP_6LambdaILl0EJEEEEEEEEEEEEEEEEEENS0_9LoopTypesINSO_IJvvvvEEES1G_EEEEEEvT0_,@function
_ZN4RAJA8internal22HipKernelLauncherFixedILi256ENS0_8LoopDataIN4camp5tupleIJNS_4SpanINS_9Iterators16numeric_iteratorIllPlEElEESA_SA_SA_EEENS4_IJEEENS3_9resources2v13HipEJZN8rajaperf4apps13LTIMES_NOVIEW17runHipVariantImplILm256ELm0EEEvNSG_9VariantIDEEUlllllE_EEENS0_24HipStatementListExecutorISM_NS3_4listIJNS_9statement3ForILl1ENS_6policy3hip11hip_indexerINS_17iteration_mapping6DirectELNS_23kernel_sync_requirementE0EJNS_3hip11IndexGlobalILNS_9named_dimE2ELi2ELi0EEEEEEJNSQ_ILl2ENST_ISV_LSW_0EJNSY_ILSZ_1ELi4ELi0EEEEEEJNSQ_ILl3ENST_ISV_LSW_0EJNSY_ILSZ_0ELi32ELi0EEEEEEJNSQ_ILl0ENSR_10sequential8seq_execEJNSP_6LambdaILl0EJEEEEEEEEEEEEEEEEEENS0_9LoopTypesINSO_IJvvvvEEES1G_EEEEEEvT0_: ; @_ZN4RAJA8internal22HipKernelLauncherFixedILi256ENS0_8LoopDataIN4camp5tupleIJNS_4SpanINS_9Iterators16numeric_iteratorIllPlEElEESA_SA_SA_EEENS4_IJEEENS3_9resources2v13HipEJZN8rajaperf4apps13LTIMES_NOVIEW17runHipVariantImplILm256ELm0EEEvNSG_9VariantIDEEUlllllE_EEENS0_24HipStatementListExecutorISM_NS3_4listIJNS_9statement3ForILl1ENS_6policy3hip11hip_indexerINS_17iteration_mapping6DirectELNS_23kernel_sync_requirementE0EJNS_3hip11IndexGlobalILNS_9named_dimE2ELi2ELi0EEEEEEJNSQ_ILl2ENST_ISV_LSW_0EJNSY_ILSZ_1ELi4ELi0EEEEEEJNSQ_ILl3ENST_ISV_LSW_0EJNSY_ILSZ_0ELi32ELi0EEEEEEJNSQ_ILl0ENSR_10sequential8seq_execEJNSP_6LambdaILl0EJEEEEEEEEEEEEEEEEEENS0_9LoopTypesINSO_IJvvvvEEES1G_EEEEEEvT0_
; %bb.0:
	s_load_b512 s[4:19], s[0:1], 0x0
	s_wait_kmcnt 0x0
	s_sub_nc_u64 s[2:3], s[6:7], s[4:5]
	s_delay_alu instid0(SALU_CYCLE_1)
	v_cmp_lt_i64_e64 s6, s[2:3], 1
	s_and_b32 vcc_lo, exec_lo, s6
	s_cbranch_vccnz .LBB2_5
; %bb.1:
	s_bfe_u32 s6, ttmp6, 0x40014
	s_lshr_b32 s7, ttmp7, 16
	s_add_co_i32 s6, s6, 1
	s_bfe_u32 s21, ttmp6, 0x40010
	s_bfe_u32 s20, ttmp6, 0x40008
	s_mul_i32 s6, s7, s6
	s_and_b32 s22, ttmp7, 0xffff
	s_add_co_i32 s21, s21, 1
	s_add_co_i32 s20, s20, s6
	s_mul_i32 s6, s22, s21
	s_bfe_u32 s21, ttmp6, 0x40004
	s_getreg_b32 s23, hwreg(HW_REG_IB_STS2, 6, 4)
	s_add_co_i32 s21, s21, s6
	s_cmp_eq_u32 s23, 0
	v_bfe_u32 v2, v0, 20, 10
	s_cselect_b32 s28, s22, s21
	s_cselect_b32 s6, s7, s20
	s_bfe_u32 s7, ttmp6, 0x4000c
	s_and_b32 s20, ttmp6, 15
	s_add_co_i32 s7, s7, 1
	v_mov_b32_e32 v3, 0
	s_mul_i32 s7, ttmp9, s7
	s_delay_alu instid0(SALU_CYCLE_1)
	s_add_co_i32 s29, s20, s7
	s_cmp_eq_u32 s23, 0
	s_load_b256 s[20:27], s[0:1], 0x58
	s_mov_b32 s7, 0
	s_cselect_b32 s34, ttmp9, s29
	s_lshl_b32 s6, s6, 1
	s_mov_b32 s35, s7
	v_add_nc_u64_e32 v[4:5], s[6:7], v[2:3]
	v_bfe_u32 v2, v0, 10, 10
	s_lshl_b32 s6, s28, 2
	s_load_b128 s[28:31], s[0:1], 0x78
	s_wait_xcnt 0x0
	s_lshl_b64 s[0:1], s[34:35], 5
	s_lshl_b64 s[4:5], s[4:5], 3
	v_add_nc_u64_e32 v[8:9], s[6:7], v[2:3]
	v_add_nc_u64_e32 v[6:7], s[8:9], v[4:5]
	v_and_b32_e32 v2, 0x3ff, v0
	s_sub_nc_u64 s[6:7], s[14:15], s[12:13]
	s_delay_alu instid0(VALU_DEP_3) | instskip(NEXT) | instid1(VALU_DEP_2)
	v_add_nc_u64_e32 v[0:1], s[12:13], v[8:9]
	v_add_nc_u64_e32 v[2:3], s[0:1], v[2:3]
	s_wait_kmcnt 0x0
	s_delay_alu instid0(VALU_DEP_4) | instskip(NEXT) | instid1(VALU_DEP_3)
	v_mul_u64_e32 v[6:7], s[24:25], v[6:7]
	v_lshlrev_b64_e32 v[12:13], 3, v[0:1]
	s_delay_alu instid0(VALU_DEP_3) | instskip(SKIP_3) | instid1(VALU_DEP_2)
	v_add_nc_u64_e32 v[10:11], s[16:17], v[2:3]
	v_mul_u64_e32 v[14:15], s[22:23], v[0:1]
	s_add_nc_u64 s[0:1], s[30:31], s[4:5]
	s_add_nc_u64 s[4:5], s[26:27], s[4:5]
	v_mul_u64_e32 v[16:17], s[28:29], v[10:11]
	v_lshl_add_u64 v[10:11], v[10:11], 3, s[20:21]
	v_mul_u64_e32 v[18:19], s[22:23], v[6:7]
	v_lshl_add_u64 v[6:7], v[6:7], 3, v[12:13]
	s_delay_alu instid0(VALU_DEP_1) | instskip(SKIP_1) | instid1(SALU_CYCLE_1)
	v_mad_nc_u64_u32 v[0:1], s28, v6, s[0:1]
	s_sub_nc_u64 s[0:1], s[10:11], s[8:9]
	v_cmp_gt_i64_e32 vcc_lo, s[0:1], v[4:5]
	v_cmp_gt_i64_e64 s0, s[6:7], v[8:9]
	s_sub_nc_u64 s[6:7], s[18:19], s[16:17]
	v_lshl_add_u64 v[4:5], v[14:15], 3, v[10:11]
	v_cmp_gt_i64_e64 s1, s[6:7], v[2:3]
	v_mad_u32 v1, s29, v6, v1
	s_and_b32 s0, vcc_lo, s0
	s_delay_alu instid0(VALU_DEP_1)
	v_mad_u32 v1, s28, v7, v1
	v_lshl_add_u64 v[2:3], v[18:19], 3, v[4:5]
	v_lshl_add_u64 v[4:5], v[16:17], 3, s[4:5]
	s_and_b32 s4, s0, s1
	s_mov_b64 s[0:1], 0
	s_branch .LBB2_3
.LBB2_2:                                ;   in Loop: Header=BB2_3 Depth=1
	s_wait_xcnt 0x0
	s_or_b32 exec_lo, exec_lo, s5
	s_add_nc_u64 s[0:1], s[0:1], 1
	v_add_nc_u64_e32 v[4:5], 8, v[4:5]
	v_cmp_lt_i64_e64 s5, s[0:1], s[2:3]
	v_add_nc_u64_e32 v[0:1], 8, v[0:1]
	s_and_b32 vcc_lo, exec_lo, s5
	s_cbranch_vccz .LBB2_5
.LBB2_3:                                ; =>This Inner Loop Header: Depth=1
	s_and_saveexec_b32 s5, s4
	s_cbranch_execz .LBB2_2
; %bb.4:                                ;   in Loop: Header=BB2_3 Depth=1
	global_load_b64 v[6:7], v[4:5], off
	global_load_b64 v[8:9], v[0:1], off
	;; [unrolled: 1-line block ×3, first 2 shown]
	s_wait_loadcnt 0x0
	v_fmac_f64_e32 v[10:11], v[6:7], v[8:9]
	global_store_b64 v[2:3], v[10:11], off
	s_branch .LBB2_2
.LBB2_5:
	s_endpgm
	.section	.rodata,"a",@progbits
	.p2align	6, 0x0
	.amdhsa_kernel _ZN4RAJA8internal22HipKernelLauncherFixedILi256ENS0_8LoopDataIN4camp5tupleIJNS_4SpanINS_9Iterators16numeric_iteratorIllPlEElEESA_SA_SA_EEENS4_IJEEENS3_9resources2v13HipEJZN8rajaperf4apps13LTIMES_NOVIEW17runHipVariantImplILm256ELm0EEEvNSG_9VariantIDEEUlllllE_EEENS0_24HipStatementListExecutorISM_NS3_4listIJNS_9statement3ForILl1ENS_6policy3hip11hip_indexerINS_17iteration_mapping6DirectELNS_23kernel_sync_requirementE0EJNS_3hip11IndexGlobalILNS_9named_dimE2ELi2ELi0EEEEEEJNSQ_ILl2ENST_ISV_LSW_0EJNSY_ILSZ_1ELi4ELi0EEEEEEJNSQ_ILl3ENST_ISV_LSW_0EJNSY_ILSZ_0ELi32ELi0EEEEEEJNSQ_ILl0ENSR_10sequential8seq_execEJNSP_6LambdaILl0EJEEEEEEEEEEEEEEEEEENS0_9LoopTypesINSO_IJvvvvEEES1G_EEEEEEvT0_
		.amdhsa_group_segment_fixed_size 0
		.amdhsa_private_segment_fixed_size 0
		.amdhsa_kernarg_size 184
		.amdhsa_user_sgpr_count 2
		.amdhsa_user_sgpr_dispatch_ptr 0
		.amdhsa_user_sgpr_queue_ptr 0
		.amdhsa_user_sgpr_kernarg_segment_ptr 1
		.amdhsa_user_sgpr_dispatch_id 0
		.amdhsa_user_sgpr_kernarg_preload_length 0
		.amdhsa_user_sgpr_kernarg_preload_offset 0
		.amdhsa_user_sgpr_private_segment_size 0
		.amdhsa_wavefront_size32 1
		.amdhsa_uses_dynamic_stack 0
		.amdhsa_enable_private_segment 0
		.amdhsa_system_sgpr_workgroup_id_x 1
		.amdhsa_system_sgpr_workgroup_id_y 1
		.amdhsa_system_sgpr_workgroup_id_z 1
		.amdhsa_system_sgpr_workgroup_info 0
		.amdhsa_system_vgpr_workitem_id 2
		.amdhsa_next_free_vgpr 20
		.amdhsa_next_free_sgpr 36
		.amdhsa_named_barrier_count 0
		.amdhsa_reserve_vcc 1
		.amdhsa_float_round_mode_32 0
		.amdhsa_float_round_mode_16_64 0
		.amdhsa_float_denorm_mode_32 3
		.amdhsa_float_denorm_mode_16_64 3
		.amdhsa_fp16_overflow 0
		.amdhsa_memory_ordered 1
		.amdhsa_forward_progress 1
		.amdhsa_inst_pref_size 5
		.amdhsa_round_robin_scheduling 0
		.amdhsa_exception_fp_ieee_invalid_op 0
		.amdhsa_exception_fp_denorm_src 0
		.amdhsa_exception_fp_ieee_div_zero 0
		.amdhsa_exception_fp_ieee_overflow 0
		.amdhsa_exception_fp_ieee_underflow 0
		.amdhsa_exception_fp_ieee_inexact 0
		.amdhsa_exception_int_div_zero 0
	.end_amdhsa_kernel
	.section	.text._ZN4RAJA8internal22HipKernelLauncherFixedILi256ENS0_8LoopDataIN4camp5tupleIJNS_4SpanINS_9Iterators16numeric_iteratorIllPlEElEESA_SA_SA_EEENS4_IJEEENS3_9resources2v13HipEJZN8rajaperf4apps13LTIMES_NOVIEW17runHipVariantImplILm256ELm0EEEvNSG_9VariantIDEEUlllllE_EEENS0_24HipStatementListExecutorISM_NS3_4listIJNS_9statement3ForILl1ENS_6policy3hip11hip_indexerINS_17iteration_mapping6DirectELNS_23kernel_sync_requirementE0EJNS_3hip11IndexGlobalILNS_9named_dimE2ELi2ELi0EEEEEEJNSQ_ILl2ENST_ISV_LSW_0EJNSY_ILSZ_1ELi4ELi0EEEEEEJNSQ_ILl3ENST_ISV_LSW_0EJNSY_ILSZ_0ELi32ELi0EEEEEEJNSQ_ILl0ENSR_10sequential8seq_execEJNSP_6LambdaILl0EJEEEEEEEEEEEEEEEEEENS0_9LoopTypesINSO_IJvvvvEEES1G_EEEEEEvT0_,"axG",@progbits,_ZN4RAJA8internal22HipKernelLauncherFixedILi256ENS0_8LoopDataIN4camp5tupleIJNS_4SpanINS_9Iterators16numeric_iteratorIllPlEElEESA_SA_SA_EEENS4_IJEEENS3_9resources2v13HipEJZN8rajaperf4apps13LTIMES_NOVIEW17runHipVariantImplILm256ELm0EEEvNSG_9VariantIDEEUlllllE_EEENS0_24HipStatementListExecutorISM_NS3_4listIJNS_9statement3ForILl1ENS_6policy3hip11hip_indexerINS_17iteration_mapping6DirectELNS_23kernel_sync_requirementE0EJNS_3hip11IndexGlobalILNS_9named_dimE2ELi2ELi0EEEEEEJNSQ_ILl2ENST_ISV_LSW_0EJNSY_ILSZ_1ELi4ELi0EEEEEEJNSQ_ILl3ENST_ISV_LSW_0EJNSY_ILSZ_0ELi32ELi0EEEEEEJNSQ_ILl0ENSR_10sequential8seq_execEJNSP_6LambdaILl0EJEEEEEEEEEEEEEEEEEENS0_9LoopTypesINSO_IJvvvvEEES1G_EEEEEEvT0_,comdat
.Lfunc_end2:
	.size	_ZN4RAJA8internal22HipKernelLauncherFixedILi256ENS0_8LoopDataIN4camp5tupleIJNS_4SpanINS_9Iterators16numeric_iteratorIllPlEElEESA_SA_SA_EEENS4_IJEEENS3_9resources2v13HipEJZN8rajaperf4apps13LTIMES_NOVIEW17runHipVariantImplILm256ELm0EEEvNSG_9VariantIDEEUlllllE_EEENS0_24HipStatementListExecutorISM_NS3_4listIJNS_9statement3ForILl1ENS_6policy3hip11hip_indexerINS_17iteration_mapping6DirectELNS_23kernel_sync_requirementE0EJNS_3hip11IndexGlobalILNS_9named_dimE2ELi2ELi0EEEEEEJNSQ_ILl2ENST_ISV_LSW_0EJNSY_ILSZ_1ELi4ELi0EEEEEEJNSQ_ILl3ENST_ISV_LSW_0EJNSY_ILSZ_0ELi32ELi0EEEEEEJNSQ_ILl0ENSR_10sequential8seq_execEJNSP_6LambdaILl0EJEEEEEEEEEEEEEEEEEENS0_9LoopTypesINSO_IJvvvvEEES1G_EEEEEEvT0_, .Lfunc_end2-_ZN4RAJA8internal22HipKernelLauncherFixedILi256ENS0_8LoopDataIN4camp5tupleIJNS_4SpanINS_9Iterators16numeric_iteratorIllPlEElEESA_SA_SA_EEENS4_IJEEENS3_9resources2v13HipEJZN8rajaperf4apps13LTIMES_NOVIEW17runHipVariantImplILm256ELm0EEEvNSG_9VariantIDEEUlllllE_EEENS0_24HipStatementListExecutorISM_NS3_4listIJNS_9statement3ForILl1ENS_6policy3hip11hip_indexerINS_17iteration_mapping6DirectELNS_23kernel_sync_requirementE0EJNS_3hip11IndexGlobalILNS_9named_dimE2ELi2ELi0EEEEEEJNSQ_ILl2ENST_ISV_LSW_0EJNSY_ILSZ_1ELi4ELi0EEEEEEJNSQ_ILl3ENST_ISV_LSW_0EJNSY_ILSZ_0ELi32ELi0EEEEEEJNSQ_ILl0ENSR_10sequential8seq_execEJNSP_6LambdaILl0EJEEEEEEEEEEEEEEEEEENS0_9LoopTypesINSO_IJvvvvEEES1G_EEEEEEvT0_
                                        ; -- End function
	.set _ZN4RAJA8internal22HipKernelLauncherFixedILi256ENS0_8LoopDataIN4camp5tupleIJNS_4SpanINS_9Iterators16numeric_iteratorIllPlEElEESA_SA_SA_EEENS4_IJEEENS3_9resources2v13HipEJZN8rajaperf4apps13LTIMES_NOVIEW17runHipVariantImplILm256ELm0EEEvNSG_9VariantIDEEUlllllE_EEENS0_24HipStatementListExecutorISM_NS3_4listIJNS_9statement3ForILl1ENS_6policy3hip11hip_indexerINS_17iteration_mapping6DirectELNS_23kernel_sync_requirementE0EJNS_3hip11IndexGlobalILNS_9named_dimE2ELi2ELi0EEEEEEJNSQ_ILl2ENST_ISV_LSW_0EJNSY_ILSZ_1ELi4ELi0EEEEEEJNSQ_ILl3ENST_ISV_LSW_0EJNSY_ILSZ_0ELi32ELi0EEEEEEJNSQ_ILl0ENSR_10sequential8seq_execEJNSP_6LambdaILl0EJEEEEEEEEEEEEEEEEEENS0_9LoopTypesINSO_IJvvvvEEES1G_EEEEEEvT0_.num_vgpr, 20
	.set _ZN4RAJA8internal22HipKernelLauncherFixedILi256ENS0_8LoopDataIN4camp5tupleIJNS_4SpanINS_9Iterators16numeric_iteratorIllPlEElEESA_SA_SA_EEENS4_IJEEENS3_9resources2v13HipEJZN8rajaperf4apps13LTIMES_NOVIEW17runHipVariantImplILm256ELm0EEEvNSG_9VariantIDEEUlllllE_EEENS0_24HipStatementListExecutorISM_NS3_4listIJNS_9statement3ForILl1ENS_6policy3hip11hip_indexerINS_17iteration_mapping6DirectELNS_23kernel_sync_requirementE0EJNS_3hip11IndexGlobalILNS_9named_dimE2ELi2ELi0EEEEEEJNSQ_ILl2ENST_ISV_LSW_0EJNSY_ILSZ_1ELi4ELi0EEEEEEJNSQ_ILl3ENST_ISV_LSW_0EJNSY_ILSZ_0ELi32ELi0EEEEEEJNSQ_ILl0ENSR_10sequential8seq_execEJNSP_6LambdaILl0EJEEEEEEEEEEEEEEEEEENS0_9LoopTypesINSO_IJvvvvEEES1G_EEEEEEvT0_.num_agpr, 0
	.set _ZN4RAJA8internal22HipKernelLauncherFixedILi256ENS0_8LoopDataIN4camp5tupleIJNS_4SpanINS_9Iterators16numeric_iteratorIllPlEElEESA_SA_SA_EEENS4_IJEEENS3_9resources2v13HipEJZN8rajaperf4apps13LTIMES_NOVIEW17runHipVariantImplILm256ELm0EEEvNSG_9VariantIDEEUlllllE_EEENS0_24HipStatementListExecutorISM_NS3_4listIJNS_9statement3ForILl1ENS_6policy3hip11hip_indexerINS_17iteration_mapping6DirectELNS_23kernel_sync_requirementE0EJNS_3hip11IndexGlobalILNS_9named_dimE2ELi2ELi0EEEEEEJNSQ_ILl2ENST_ISV_LSW_0EJNSY_ILSZ_1ELi4ELi0EEEEEEJNSQ_ILl3ENST_ISV_LSW_0EJNSY_ILSZ_0ELi32ELi0EEEEEEJNSQ_ILl0ENSR_10sequential8seq_execEJNSP_6LambdaILl0EJEEEEEEEEEEEEEEEEEENS0_9LoopTypesINSO_IJvvvvEEES1G_EEEEEEvT0_.numbered_sgpr, 36
	.set _ZN4RAJA8internal22HipKernelLauncherFixedILi256ENS0_8LoopDataIN4camp5tupleIJNS_4SpanINS_9Iterators16numeric_iteratorIllPlEElEESA_SA_SA_EEENS4_IJEEENS3_9resources2v13HipEJZN8rajaperf4apps13LTIMES_NOVIEW17runHipVariantImplILm256ELm0EEEvNSG_9VariantIDEEUlllllE_EEENS0_24HipStatementListExecutorISM_NS3_4listIJNS_9statement3ForILl1ENS_6policy3hip11hip_indexerINS_17iteration_mapping6DirectELNS_23kernel_sync_requirementE0EJNS_3hip11IndexGlobalILNS_9named_dimE2ELi2ELi0EEEEEEJNSQ_ILl2ENST_ISV_LSW_0EJNSY_ILSZ_1ELi4ELi0EEEEEEJNSQ_ILl3ENST_ISV_LSW_0EJNSY_ILSZ_0ELi32ELi0EEEEEEJNSQ_ILl0ENSR_10sequential8seq_execEJNSP_6LambdaILl0EJEEEEEEEEEEEEEEEEEENS0_9LoopTypesINSO_IJvvvvEEES1G_EEEEEEvT0_.num_named_barrier, 0
	.set _ZN4RAJA8internal22HipKernelLauncherFixedILi256ENS0_8LoopDataIN4camp5tupleIJNS_4SpanINS_9Iterators16numeric_iteratorIllPlEElEESA_SA_SA_EEENS4_IJEEENS3_9resources2v13HipEJZN8rajaperf4apps13LTIMES_NOVIEW17runHipVariantImplILm256ELm0EEEvNSG_9VariantIDEEUlllllE_EEENS0_24HipStatementListExecutorISM_NS3_4listIJNS_9statement3ForILl1ENS_6policy3hip11hip_indexerINS_17iteration_mapping6DirectELNS_23kernel_sync_requirementE0EJNS_3hip11IndexGlobalILNS_9named_dimE2ELi2ELi0EEEEEEJNSQ_ILl2ENST_ISV_LSW_0EJNSY_ILSZ_1ELi4ELi0EEEEEEJNSQ_ILl3ENST_ISV_LSW_0EJNSY_ILSZ_0ELi32ELi0EEEEEEJNSQ_ILl0ENSR_10sequential8seq_execEJNSP_6LambdaILl0EJEEEEEEEEEEEEEEEEEENS0_9LoopTypesINSO_IJvvvvEEES1G_EEEEEEvT0_.private_seg_size, 0
	.set _ZN4RAJA8internal22HipKernelLauncherFixedILi256ENS0_8LoopDataIN4camp5tupleIJNS_4SpanINS_9Iterators16numeric_iteratorIllPlEElEESA_SA_SA_EEENS4_IJEEENS3_9resources2v13HipEJZN8rajaperf4apps13LTIMES_NOVIEW17runHipVariantImplILm256ELm0EEEvNSG_9VariantIDEEUlllllE_EEENS0_24HipStatementListExecutorISM_NS3_4listIJNS_9statement3ForILl1ENS_6policy3hip11hip_indexerINS_17iteration_mapping6DirectELNS_23kernel_sync_requirementE0EJNS_3hip11IndexGlobalILNS_9named_dimE2ELi2ELi0EEEEEEJNSQ_ILl2ENST_ISV_LSW_0EJNSY_ILSZ_1ELi4ELi0EEEEEEJNSQ_ILl3ENST_ISV_LSW_0EJNSY_ILSZ_0ELi32ELi0EEEEEEJNSQ_ILl0ENSR_10sequential8seq_execEJNSP_6LambdaILl0EJEEEEEEEEEEEEEEEEEENS0_9LoopTypesINSO_IJvvvvEEES1G_EEEEEEvT0_.uses_vcc, 1
	.set _ZN4RAJA8internal22HipKernelLauncherFixedILi256ENS0_8LoopDataIN4camp5tupleIJNS_4SpanINS_9Iterators16numeric_iteratorIllPlEElEESA_SA_SA_EEENS4_IJEEENS3_9resources2v13HipEJZN8rajaperf4apps13LTIMES_NOVIEW17runHipVariantImplILm256ELm0EEEvNSG_9VariantIDEEUlllllE_EEENS0_24HipStatementListExecutorISM_NS3_4listIJNS_9statement3ForILl1ENS_6policy3hip11hip_indexerINS_17iteration_mapping6DirectELNS_23kernel_sync_requirementE0EJNS_3hip11IndexGlobalILNS_9named_dimE2ELi2ELi0EEEEEEJNSQ_ILl2ENST_ISV_LSW_0EJNSY_ILSZ_1ELi4ELi0EEEEEEJNSQ_ILl3ENST_ISV_LSW_0EJNSY_ILSZ_0ELi32ELi0EEEEEEJNSQ_ILl0ENSR_10sequential8seq_execEJNSP_6LambdaILl0EJEEEEEEEEEEEEEEEEEENS0_9LoopTypesINSO_IJvvvvEEES1G_EEEEEEvT0_.uses_flat_scratch, 0
	.set _ZN4RAJA8internal22HipKernelLauncherFixedILi256ENS0_8LoopDataIN4camp5tupleIJNS_4SpanINS_9Iterators16numeric_iteratorIllPlEElEESA_SA_SA_EEENS4_IJEEENS3_9resources2v13HipEJZN8rajaperf4apps13LTIMES_NOVIEW17runHipVariantImplILm256ELm0EEEvNSG_9VariantIDEEUlllllE_EEENS0_24HipStatementListExecutorISM_NS3_4listIJNS_9statement3ForILl1ENS_6policy3hip11hip_indexerINS_17iteration_mapping6DirectELNS_23kernel_sync_requirementE0EJNS_3hip11IndexGlobalILNS_9named_dimE2ELi2ELi0EEEEEEJNSQ_ILl2ENST_ISV_LSW_0EJNSY_ILSZ_1ELi4ELi0EEEEEEJNSQ_ILl3ENST_ISV_LSW_0EJNSY_ILSZ_0ELi32ELi0EEEEEEJNSQ_ILl0ENSR_10sequential8seq_execEJNSP_6LambdaILl0EJEEEEEEEEEEEEEEEEEENS0_9LoopTypesINSO_IJvvvvEEES1G_EEEEEEvT0_.has_dyn_sized_stack, 0
	.set _ZN4RAJA8internal22HipKernelLauncherFixedILi256ENS0_8LoopDataIN4camp5tupleIJNS_4SpanINS_9Iterators16numeric_iteratorIllPlEElEESA_SA_SA_EEENS4_IJEEENS3_9resources2v13HipEJZN8rajaperf4apps13LTIMES_NOVIEW17runHipVariantImplILm256ELm0EEEvNSG_9VariantIDEEUlllllE_EEENS0_24HipStatementListExecutorISM_NS3_4listIJNS_9statement3ForILl1ENS_6policy3hip11hip_indexerINS_17iteration_mapping6DirectELNS_23kernel_sync_requirementE0EJNS_3hip11IndexGlobalILNS_9named_dimE2ELi2ELi0EEEEEEJNSQ_ILl2ENST_ISV_LSW_0EJNSY_ILSZ_1ELi4ELi0EEEEEEJNSQ_ILl3ENST_ISV_LSW_0EJNSY_ILSZ_0ELi32ELi0EEEEEEJNSQ_ILl0ENSR_10sequential8seq_execEJNSP_6LambdaILl0EJEEEEEEEEEEEEEEEEEENS0_9LoopTypesINSO_IJvvvvEEES1G_EEEEEEvT0_.has_recursion, 0
	.set _ZN4RAJA8internal22HipKernelLauncherFixedILi256ENS0_8LoopDataIN4camp5tupleIJNS_4SpanINS_9Iterators16numeric_iteratorIllPlEElEESA_SA_SA_EEENS4_IJEEENS3_9resources2v13HipEJZN8rajaperf4apps13LTIMES_NOVIEW17runHipVariantImplILm256ELm0EEEvNSG_9VariantIDEEUlllllE_EEENS0_24HipStatementListExecutorISM_NS3_4listIJNS_9statement3ForILl1ENS_6policy3hip11hip_indexerINS_17iteration_mapping6DirectELNS_23kernel_sync_requirementE0EJNS_3hip11IndexGlobalILNS_9named_dimE2ELi2ELi0EEEEEEJNSQ_ILl2ENST_ISV_LSW_0EJNSY_ILSZ_1ELi4ELi0EEEEEEJNSQ_ILl3ENST_ISV_LSW_0EJNSY_ILSZ_0ELi32ELi0EEEEEEJNSQ_ILl0ENSR_10sequential8seq_execEJNSP_6LambdaILl0EJEEEEEEEEEEEEEEEEEENS0_9LoopTypesINSO_IJvvvvEEES1G_EEEEEEvT0_.has_indirect_call, 0
	.section	.AMDGPU.csdata,"",@progbits
; Kernel info:
; codeLenInByte = 524
; TotalNumSgprs: 38
; NumVgprs: 20
; ScratchSize: 0
; MemoryBound: 1
; FloatMode: 240
; IeeeMode: 1
; LDSByteSize: 0 bytes/workgroup (compile time only)
; SGPRBlocks: 0
; VGPRBlocks: 1
; NumSGPRsForWavesPerEU: 38
; NumVGPRsForWavesPerEU: 20
; NamedBarCnt: 0
; Occupancy: 16
; WaveLimiterHint : 0
; COMPUTE_PGM_RSRC2:SCRATCH_EN: 0
; COMPUTE_PGM_RSRC2:USER_SGPR: 2
; COMPUTE_PGM_RSRC2:TRAP_HANDLER: 0
; COMPUTE_PGM_RSRC2:TGID_X_EN: 1
; COMPUTE_PGM_RSRC2:TGID_Y_EN: 1
; COMPUTE_PGM_RSRC2:TGID_Z_EN: 1
; COMPUTE_PGM_RSRC2:TIDIG_COMP_CNT: 2
	.section	.text._ZN8rajaperf4apps17ltimes_noview_lamILm32ELm4ELm2EZNS0_13LTIMES_NOVIEW17runHipVariantImplILm256ELm1EEEvNS_9VariantIDEEUllllE_EEvlllT2_,"axG",@progbits,_ZN8rajaperf4apps17ltimes_noview_lamILm32ELm4ELm2EZNS0_13LTIMES_NOVIEW17runHipVariantImplILm256ELm1EEEvNS_9VariantIDEEUllllE_EEvlllT2_,comdat
	.protected	_ZN8rajaperf4apps17ltimes_noview_lamILm32ELm4ELm2EZNS0_13LTIMES_NOVIEW17runHipVariantImplILm256ELm1EEEvNS_9VariantIDEEUllllE_EEvlllT2_ ; -- Begin function _ZN8rajaperf4apps17ltimes_noview_lamILm32ELm4ELm2EZNS0_13LTIMES_NOVIEW17runHipVariantImplILm256ELm1EEEvNS_9VariantIDEEUllllE_EEvlllT2_
	.globl	_ZN8rajaperf4apps17ltimes_noview_lamILm32ELm4ELm2EZNS0_13LTIMES_NOVIEW17runHipVariantImplILm256ELm1EEEvNS_9VariantIDEEUllllE_EEvlllT2_
	.p2align	8
	.type	_ZN8rajaperf4apps17ltimes_noview_lamILm32ELm4ELm2EZNS0_13LTIMES_NOVIEW17runHipVariantImplILm256ELm1EEEvNS_9VariantIDEEUllllE_EEvlllT2_,@function
_ZN8rajaperf4apps17ltimes_noview_lamILm32ELm4ELm2EZNS0_13LTIMES_NOVIEW17runHipVariantImplILm256ELm1EEEvNS_9VariantIDEEUllllE_EEvlllT2_: ; @_ZN8rajaperf4apps17ltimes_noview_lamILm32ELm4ELm2EZNS0_13LTIMES_NOVIEW17runHipVariantImplILm256ELm1EEEvNS_9VariantIDEEUllllE_EEvlllT2_
; %bb.0:
	s_bfe_u32 s2, ttmp6, 0x40010
	s_and_b32 s3, ttmp7, 0xffff
	s_add_co_i32 s2, s2, 1
	s_bfe_u32 s4, ttmp6, 0x40004
	s_mul_i32 s2, s3, s2
	s_getreg_b32 s5, hwreg(HW_REG_IB_STS2, 6, 4)
	s_add_co_i32 s4, s4, s2
	s_cmp_eq_u32 s5, 0
	v_and_b32_e32 v6, 0x3ff, v0
	s_cselect_b32 s14, s3, s4
	s_bfe_u32 s2, ttmp6, 0x40014
	s_lshr_b32 s3, ttmp7, 16
	s_add_co_i32 s2, s2, 1
	s_bfe_u32 s4, ttmp6, 0x40008
	s_mul_i32 s2, s3, s2
	v_mov_b32_e32 v7, 0
	s_add_co_i32 s4, s4, s2
	s_cmp_eq_u32 s5, 0
	s_cselect_b32 s15, s3, s4
	s_bfe_u32 s2, ttmp6, 0x4000c
	s_and_b32 s4, ttmp6, 15
	s_add_co_i32 s2, s2, 1
	s_mov_b32 s3, 0
	s_mul_i32 s2, ttmp9, s2
	s_delay_alu instid0(SALU_CYCLE_1) | instskip(SKIP_3) | instid1(SALU_CYCLE_1)
	s_add_co_i32 s2, s4, s2
	s_cmp_eq_u32 s5, 0
	s_load_b256 s[4:11], s[0:1], 0x0
	s_cselect_b32 s2, ttmp9, s2
	s_lshl_b64 s[12:13], s[2:3], 5
	s_lshl_b32 s2, s14, 2
	v_add_nc_u64_e32 v[2:3], s[12:13], v[6:7]
	v_bfe_u32 v6, v0, 10, 10
	s_delay_alu instid0(VALU_DEP_1)
	v_add_nc_u64_e32 v[4:5], s[2:3], v[6:7]
	v_bfe_u32 v6, v0, 20, 10
	s_lshl_b32 s2, s15, 1
	s_delay_alu instid0(VALU_DEP_1) | instid1(SALU_CYCLE_1)
	v_add_nc_u64_e32 v[0:1], s[2:3], v[6:7]
	s_wait_kmcnt 0x0
	v_cmp_gt_i64_e32 vcc_lo, s[4:5], v[2:3]
	s_delay_alu instid0(VALU_DEP_4) | instskip(SKIP_1) | instid1(VALU_DEP_4)
	v_cmp_gt_i64_e64 s2, s[6:7], v[4:5]
	v_cmp_gt_i64_e64 s4, s[10:11], 0
	;; [unrolled: 1-line block ×3, first 2 shown]
	s_and_b32 s2, vcc_lo, s2
	s_delay_alu instid0(SALU_CYCLE_1) | instskip(NEXT) | instid1(SALU_CYCLE_1)
	s_and_b32 s2, s2, s3
	s_and_b32 s2, s2, s4
	s_delay_alu instid0(SALU_CYCLE_1)
	s_and_saveexec_b32 s3, s2
	s_cbranch_execz .LBB3_3
; %bb.1:
	s_load_b256 s[12:19], s[0:1], 0x20
	s_wait_kmcnt 0x0
	v_mul_u64_e32 v[6:7], s[16:17], v[0:1]
	v_mul_u64_e32 v[8:9], s[14:15], v[4:5]
	v_lshl_add_u64 v[10:11], v[2:3], 3, s[12:13]
	v_mul_u64_e32 v[0:1], s[10:11], v[0:1]
	v_mul_u64_e32 v[4:5], s[10:11], v[4:5]
	;; [unrolled: 1-line block ×3, first 2 shown]
	s_load_b64 s[0:1], s[0:1], 0x40
	v_mul_u64_e32 v[6:7], s[14:15], v[6:7]
	v_lshl_add_u64 v[8:9], v[8:9], 3, v[10:11]
	v_mul_u64_e32 v[10:11], s[16:17], v[0:1]
	s_wait_kmcnt 0x0
	v_lshl_add_u64 v[4:5], v[4:5], 3, s[0:1]
	v_lshl_add_u64 v[0:1], v[2:3], 3, s[18:19]
	v_lshl_add_u64 v[6:7], v[6:7], 3, v[8:9]
	s_delay_alu instid0(VALU_DEP_3)
	v_lshl_add_u64 v[2:3], v[10:11], 3, v[4:5]
	global_load_b64 v[8:9], v[6:7], off
.LBB3_2:                                ; =>This Inner Loop Header: Depth=1
	global_load_b64 v[4:5], v[0:1], off
	global_load_b64 v[10:11], v[2:3], off
	s_wait_xcnt 0x1
	v_add_nc_u64_e32 v[0:1], 8, v[0:1]
	s_wait_xcnt 0x0
	v_add_nc_u64_e32 v[2:3], 8, v[2:3]
	s_add_nc_u64 s[10:11], s[10:11], -1
	s_delay_alu instid0(SALU_CYCLE_1)
	s_cmp_lg_u64 s[10:11], 0
	s_wait_loadcnt 0x0
	v_fmac_f64_e32 v[8:9], v[4:5], v[10:11]
	global_store_b64 v[6:7], v[8:9], off
	s_cbranch_scc1 .LBB3_2
.LBB3_3:
	s_endpgm
	.section	.rodata,"a",@progbits
	.p2align	6, 0x0
	.amdhsa_kernel _ZN8rajaperf4apps17ltimes_noview_lamILm32ELm4ELm2EZNS0_13LTIMES_NOVIEW17runHipVariantImplILm256ELm1EEEvNS_9VariantIDEEUllllE_EEvlllT2_
		.amdhsa_group_segment_fixed_size 0
		.amdhsa_private_segment_fixed_size 0
		.amdhsa_kernarg_size 72
		.amdhsa_user_sgpr_count 2
		.amdhsa_user_sgpr_dispatch_ptr 0
		.amdhsa_user_sgpr_queue_ptr 0
		.amdhsa_user_sgpr_kernarg_segment_ptr 1
		.amdhsa_user_sgpr_dispatch_id 0
		.amdhsa_user_sgpr_kernarg_preload_length 0
		.amdhsa_user_sgpr_kernarg_preload_offset 0
		.amdhsa_user_sgpr_private_segment_size 0
		.amdhsa_wavefront_size32 1
		.amdhsa_uses_dynamic_stack 0
		.amdhsa_enable_private_segment 0
		.amdhsa_system_sgpr_workgroup_id_x 1
		.amdhsa_system_sgpr_workgroup_id_y 1
		.amdhsa_system_sgpr_workgroup_id_z 1
		.amdhsa_system_sgpr_workgroup_info 0
		.amdhsa_system_vgpr_workitem_id 2
		.amdhsa_next_free_vgpr 12
		.amdhsa_next_free_sgpr 20
		.amdhsa_named_barrier_count 0
		.amdhsa_reserve_vcc 1
		.amdhsa_float_round_mode_32 0
		.amdhsa_float_round_mode_16_64 0
		.amdhsa_float_denorm_mode_32 3
		.amdhsa_float_denorm_mode_16_64 3
		.amdhsa_fp16_overflow 0
		.amdhsa_memory_ordered 1
		.amdhsa_forward_progress 1
		.amdhsa_inst_pref_size 4
		.amdhsa_round_robin_scheduling 0
		.amdhsa_exception_fp_ieee_invalid_op 0
		.amdhsa_exception_fp_denorm_src 0
		.amdhsa_exception_fp_ieee_div_zero 0
		.amdhsa_exception_fp_ieee_overflow 0
		.amdhsa_exception_fp_ieee_underflow 0
		.amdhsa_exception_fp_ieee_inexact 0
		.amdhsa_exception_int_div_zero 0
	.end_amdhsa_kernel
	.section	.text._ZN8rajaperf4apps17ltimes_noview_lamILm32ELm4ELm2EZNS0_13LTIMES_NOVIEW17runHipVariantImplILm256ELm1EEEvNS_9VariantIDEEUllllE_EEvlllT2_,"axG",@progbits,_ZN8rajaperf4apps17ltimes_noview_lamILm32ELm4ELm2EZNS0_13LTIMES_NOVIEW17runHipVariantImplILm256ELm1EEEvNS_9VariantIDEEUllllE_EEvlllT2_,comdat
.Lfunc_end3:
	.size	_ZN8rajaperf4apps17ltimes_noview_lamILm32ELm4ELm2EZNS0_13LTIMES_NOVIEW17runHipVariantImplILm256ELm1EEEvNS_9VariantIDEEUllllE_EEvlllT2_, .Lfunc_end3-_ZN8rajaperf4apps17ltimes_noview_lamILm32ELm4ELm2EZNS0_13LTIMES_NOVIEW17runHipVariantImplILm256ELm1EEEvNS_9VariantIDEEUllllE_EEvlllT2_
                                        ; -- End function
	.set _ZN8rajaperf4apps17ltimes_noview_lamILm32ELm4ELm2EZNS0_13LTIMES_NOVIEW17runHipVariantImplILm256ELm1EEEvNS_9VariantIDEEUllllE_EEvlllT2_.num_vgpr, 12
	.set _ZN8rajaperf4apps17ltimes_noview_lamILm32ELm4ELm2EZNS0_13LTIMES_NOVIEW17runHipVariantImplILm256ELm1EEEvNS_9VariantIDEEUllllE_EEvlllT2_.num_agpr, 0
	.set _ZN8rajaperf4apps17ltimes_noview_lamILm32ELm4ELm2EZNS0_13LTIMES_NOVIEW17runHipVariantImplILm256ELm1EEEvNS_9VariantIDEEUllllE_EEvlllT2_.numbered_sgpr, 20
	.set _ZN8rajaperf4apps17ltimes_noview_lamILm32ELm4ELm2EZNS0_13LTIMES_NOVIEW17runHipVariantImplILm256ELm1EEEvNS_9VariantIDEEUllllE_EEvlllT2_.num_named_barrier, 0
	.set _ZN8rajaperf4apps17ltimes_noview_lamILm32ELm4ELm2EZNS0_13LTIMES_NOVIEW17runHipVariantImplILm256ELm1EEEvNS_9VariantIDEEUllllE_EEvlllT2_.private_seg_size, 0
	.set _ZN8rajaperf4apps17ltimes_noview_lamILm32ELm4ELm2EZNS0_13LTIMES_NOVIEW17runHipVariantImplILm256ELm1EEEvNS_9VariantIDEEUllllE_EEvlllT2_.uses_vcc, 1
	.set _ZN8rajaperf4apps17ltimes_noview_lamILm32ELm4ELm2EZNS0_13LTIMES_NOVIEW17runHipVariantImplILm256ELm1EEEvNS_9VariantIDEEUllllE_EEvlllT2_.uses_flat_scratch, 0
	.set _ZN8rajaperf4apps17ltimes_noview_lamILm32ELm4ELm2EZNS0_13LTIMES_NOVIEW17runHipVariantImplILm256ELm1EEEvNS_9VariantIDEEUllllE_EEvlllT2_.has_dyn_sized_stack, 0
	.set _ZN8rajaperf4apps17ltimes_noview_lamILm32ELm4ELm2EZNS0_13LTIMES_NOVIEW17runHipVariantImplILm256ELm1EEEvNS_9VariantIDEEUllllE_EEvlllT2_.has_recursion, 0
	.set _ZN8rajaperf4apps17ltimes_noview_lamILm32ELm4ELm2EZNS0_13LTIMES_NOVIEW17runHipVariantImplILm256ELm1EEEvNS_9VariantIDEEUllllE_EEvlllT2_.has_indirect_call, 0
	.section	.AMDGPU.csdata,"",@progbits
; Kernel info:
; codeLenInByte = 456
; TotalNumSgprs: 22
; NumVgprs: 12
; ScratchSize: 0
; MemoryBound: 0
; FloatMode: 240
; IeeeMode: 1
; LDSByteSize: 0 bytes/workgroup (compile time only)
; SGPRBlocks: 0
; VGPRBlocks: 0
; NumSGPRsForWavesPerEU: 22
; NumVGPRsForWavesPerEU: 12
; NamedBarCnt: 0
; Occupancy: 16
; WaveLimiterHint : 0
; COMPUTE_PGM_RSRC2:SCRATCH_EN: 0
; COMPUTE_PGM_RSRC2:USER_SGPR: 2
; COMPUTE_PGM_RSRC2:TRAP_HANDLER: 0
; COMPUTE_PGM_RSRC2:TGID_X_EN: 1
; COMPUTE_PGM_RSRC2:TGID_Y_EN: 1
; COMPUTE_PGM_RSRC2:TGID_Z_EN: 1
; COMPUTE_PGM_RSRC2:TIDIG_COMP_CNT: 2
	.section	.text._ZN4RAJA34launch_new_reduce_global_fcn_fixedIZN8rajaperf4apps13LTIMES_NOVIEW17runHipVariantImplILm256ELm1EEEvNS1_9VariantIDEEUlNS_14LaunchContextTINS_3hip33LaunchContextIndicesAndDimsPolicyINS7_14IndicesAndDimsILb0ELb0ELb0ELb0EEEEEEEE_Li256ENS_4expt15ForallParamPackIJEEEEEvT_T1_,"axG",@progbits,_ZN4RAJA34launch_new_reduce_global_fcn_fixedIZN8rajaperf4apps13LTIMES_NOVIEW17runHipVariantImplILm256ELm1EEEvNS1_9VariantIDEEUlNS_14LaunchContextTINS_3hip33LaunchContextIndicesAndDimsPolicyINS7_14IndicesAndDimsILb0ELb0ELb0ELb0EEEEEEEE_Li256ENS_4expt15ForallParamPackIJEEEEEvT_T1_,comdat
	.protected	_ZN4RAJA34launch_new_reduce_global_fcn_fixedIZN8rajaperf4apps13LTIMES_NOVIEW17runHipVariantImplILm256ELm1EEEvNS1_9VariantIDEEUlNS_14LaunchContextTINS_3hip33LaunchContextIndicesAndDimsPolicyINS7_14IndicesAndDimsILb0ELb0ELb0ELb0EEEEEEEE_Li256ENS_4expt15ForallParamPackIJEEEEEvT_T1_ ; -- Begin function _ZN4RAJA34launch_new_reduce_global_fcn_fixedIZN8rajaperf4apps13LTIMES_NOVIEW17runHipVariantImplILm256ELm1EEEvNS1_9VariantIDEEUlNS_14LaunchContextTINS_3hip33LaunchContextIndicesAndDimsPolicyINS7_14IndicesAndDimsILb0ELb0ELb0ELb0EEEEEEEE_Li256ENS_4expt15ForallParamPackIJEEEEEvT_T1_
	.globl	_ZN4RAJA34launch_new_reduce_global_fcn_fixedIZN8rajaperf4apps13LTIMES_NOVIEW17runHipVariantImplILm256ELm1EEEvNS1_9VariantIDEEUlNS_14LaunchContextTINS_3hip33LaunchContextIndicesAndDimsPolicyINS7_14IndicesAndDimsILb0ELb0ELb0ELb0EEEEEEEE_Li256ENS_4expt15ForallParamPackIJEEEEEvT_T1_
	.p2align	8
	.type	_ZN4RAJA34launch_new_reduce_global_fcn_fixedIZN8rajaperf4apps13LTIMES_NOVIEW17runHipVariantImplILm256ELm1EEEvNS1_9VariantIDEEUlNS_14LaunchContextTINS_3hip33LaunchContextIndicesAndDimsPolicyINS7_14IndicesAndDimsILb0ELb0ELb0ELb0EEEEEEEE_Li256ENS_4expt15ForallParamPackIJEEEEEvT_T1_,@function
_ZN4RAJA34launch_new_reduce_global_fcn_fixedIZN8rajaperf4apps13LTIMES_NOVIEW17runHipVariantImplILm256ELm1EEEvNS1_9VariantIDEEUlNS_14LaunchContextTINS_3hip33LaunchContextIndicesAndDimsPolicyINS7_14IndicesAndDimsILb0ELb0ELb0ELb0EEEEEEEE_Li256ENS_4expt15ForallParamPackIJEEEEEvT_T1_: ; @_ZN4RAJA34launch_new_reduce_global_fcn_fixedIZN8rajaperf4apps13LTIMES_NOVIEW17runHipVariantImplILm256ELm1EEEvNS1_9VariantIDEEUlNS_14LaunchContextTINS_3hip33LaunchContextIndicesAndDimsPolicyINS7_14IndicesAndDimsILb0ELb0ELb0ELb0EEEEEEEE_Li256ENS_4expt15ForallParamPackIJEEEEEvT_T1_
; %bb.0:
	s_load_b256 s[4:11], s[0:1], 0x0
	s_bfe_u32 s2, ttmp6, 0x40014
	s_lshr_b32 s3, ttmp7, 16
	s_add_co_i32 s2, s2, 1
	s_bfe_u32 s13, ttmp6, 0x40008
	s_mul_i32 s2, s3, s2
	s_getreg_b32 s12, hwreg(HW_REG_IB_STS2, 6, 4)
	s_add_co_i32 s13, s13, s2
	s_cmp_eq_u32 s12, 0
	v_bfe_u32 v6, v0, 20, 10
	v_mov_b32_e32 v7, 0
	s_cselect_b32 s2, s3, s13
	s_mov_b32 s3, 0
	s_lshl_b32 s2, s2, 1
	s_delay_alu instid0(VALU_DEP_1) | instid1(SALU_CYCLE_1)
	v_add_nc_u64_e32 v[2:3], s[2:3], v[6:7]
	s_mov_b32 s2, exec_lo
	s_wait_kmcnt 0x0
	s_delay_alu instid0(VALU_DEP_1)
	v_cmpx_gt_i64_e64 s[4:5], v[2:3]
	s_cbranch_execz .LBB4_12
; %bb.1:
	v_max_i64 v[4:5], s[10:11], 0
	v_mul_u64_e32 v[8:9], s[6:7], v[2:3]
	s_clause 0x1
	s_load_b64 s[22:23], s[0:1], 0x44
	s_load_b64 s[14:15], s[0:1], 0x30
	s_bfe_u32 s2, ttmp6, 0x40010
	s_and_b32 s18, ttmp7, 0xffff
	s_bfe_u32 s19, ttmp6, 0x4000c
	s_add_co_i32 s2, s2, 1
	s_bfe_u32 s16, ttmp6, 0x40004
	s_add_co_i32 s19, s19, 1
	s_mul_i32 s2, s18, s2
	s_and_b32 s17, ttmp6, 15
	s_mul_i32 s19, ttmp9, s19
	s_add_co_i32 s24, s16, s2
	s_add_co_i32 s19, s17, s19
	s_mov_b32 s21, s3
	v_bfe_u32 v6, v0, 10, 10
	v_and_b32_e32 v0, 0x3ff, v0
	v_mov_b32_e32 v1, v7
	s_mov_b32 s13, s3
	s_mov_b32 s25, s3
	;; [unrolled: 1-line block ×3, first 2 shown]
	s_wait_kmcnt 0x0
	s_mov_b32 s2, s23
	s_mov_b32 s23, s3
	s_lshl_b64 s[16:17], s[2:3], 1
	s_cmp_eq_u32 s12, 0
	s_cselect_b32 s20, ttmp9, s19
	s_cselect_b32 s24, s18, s24
	s_lshl_b64 s[18:19], s[22:23], 2
	s_lshl_b32 s12, s24, 2
	s_lshl_b64 s[20:21], s[20:21], 5
	s_mul_u64 s[22:23], s[10:11], s[22:23]
	v_readfirstlane_b32 s28, v4
	v_add_nc_u64_e32 v[4:5], s[12:13], v[6:7]
	v_lshlrev_b32_e32 v6, 3, v6
	v_add_nc_u64_e32 v[0:1], s[20:21], v[0:1]
	s_add_nc_u64 s[20:21], s[0:1], 64
	s_cmp_gt_i32 s28, 0
	s_cselect_b32 s29, -1, 0
	s_lshl_b32 s24, s24, 5
	s_lshl_b64 s[22:23], s[22:23], 5
	v_lshl_add_u64 v[8:9], v[8:9], 3, s[24:25]
	v_mul_u64_e32 v[10:11], s[10:11], v[0:1]
	s_mul_u64 s[24:25], s[6:7], s[10:11]
	s_delay_alu instid0(SALU_CYCLE_1) | instskip(NEXT) | instid1(VALU_DEP_2)
	s_mul_u64 s[24:25], s[24:25], s[2:3]
	v_add_nc_u64_e32 v[8:9], v[8:9], v[6:7]
	s_delay_alu instid0(VALU_DEP_1) | instskip(SKIP_4) | instid1(VALU_DEP_3)
	v_mad_nc_u64_u32 v[6:7], s10, v8, s[14:15]
	s_load_b128 s[12:15], s[0:1], 0x20
	s_wait_xcnt 0x0
	v_cmp_gt_i64_e64 s0, s[6:7], v[4:5]
	v_cmp_gt_i64_e64 s1, s[8:9], v[0:1]
	v_mad_u32 v7, s11, v8, v7
	s_delay_alu instid0(VALU_DEP_1)
	v_mad_u32 v7, s10, v9, v7
	s_wait_kmcnt 0x0
	v_lshl_add_u64 v[8:9], v[10:11], 3, s[14:15]
	s_lshl_b64 s[14:15], s[10:11], 8
	s_lshl_b64 s[10:11], s[24:25], 4
	s_branch .LBB4_3
.LBB4_2:                                ;   in Loop: Header=BB4_3 Depth=1
	s_or_b32 exec_lo, exec_lo, s31
	v_add_nc_u64_e32 v[2:3], s[16:17], v[2:3]
	s_delay_alu instid0(VALU_DEP_3) | instskip(NEXT) | instid1(VALU_DEP_2)
	v_add_nc_u64_e32 v[6:7], s[10:11], v[6:7]
	v_cmp_le_i64_e32 vcc_lo, s[4:5], v[2:3]
	s_or_b32 s30, vcc_lo, s30
	s_delay_alu instid0(SALU_CYCLE_1)
	s_and_not1_b32 exec_lo, exec_lo, s30
	s_cbranch_execz .LBB4_12
.LBB4_3:                                ; =>This Loop Header: Depth=1
                                        ;     Child Loop BB4_6 Depth 2
                                        ;       Child Loop BB4_9 Depth 3
                                        ;         Child Loop BB4_11 Depth 4
	s_and_saveexec_b32 s31, s0
	s_cbranch_execz .LBB4_2
; %bb.4:                                ;   in Loop: Header=BB4_3 Depth=1
	v_mul_u64_e32 v[10:11], s[6:7], v[2:3]
	s_load_b32 s2, s[20:21], 0x0
	v_mov_b64_e32 v[14:15], v[4:5]
	s_wait_kmcnt 0x0
	s_lshl_b64 s[24:25], s[2:3], 5
	s_mul_u64 s[26:27], s[14:15], s[2:3]
	s_mov_b32 s2, 0
	s_delay_alu instid0(VALU_DEP_2) | instskip(SKIP_1) | instid1(VALU_DEP_2)
	v_mul_u64_e32 v[12:13], s[8:9], v[10:11]
	v_mov_b64_e32 v[10:11], v[6:7]
	v_lshl_add_u64 v[12:13], v[12:13], 3, s[12:13]
	s_branch .LBB4_6
.LBB4_5:                                ;   in Loop: Header=BB4_6 Depth=2
	s_or_b32 exec_lo, exec_lo, s33
	v_add_nc_u64_e32 v[14:15], s[18:19], v[14:15]
	v_add_nc_u64_e32 v[10:11], s[22:23], v[10:11]
	s_delay_alu instid0(VALU_DEP_2) | instskip(SKIP_1) | instid1(SALU_CYCLE_1)
	v_cmp_le_i64_e32 vcc_lo, s[6:7], v[14:15]
	s_or_b32 s2, vcc_lo, s2
	s_and_not1_b32 exec_lo, exec_lo, s2
	s_cbranch_execz .LBB4_2
.LBB4_6:                                ;   Parent Loop BB4_3 Depth=1
                                        ; =>  This Loop Header: Depth=2
                                        ;       Child Loop BB4_9 Depth 3
                                        ;         Child Loop BB4_11 Depth 4
	s_and_saveexec_b32 s33, s1
	s_cbranch_execz .LBB4_5
; %bb.7:                                ;   in Loop: Header=BB4_6 Depth=2
	v_mul_u64_e32 v[18:19], s[8:9], v[14:15]
	v_mov_b64_e32 v[16:17], v[8:9]
	v_mov_b64_e32 v[20:21], v[0:1]
	s_mov_b32 s34, 0
	s_delay_alu instid0(VALU_DEP_3)
	v_lshl_add_u64 v[18:19], v[18:19], 3, v[12:13]
	s_branch .LBB4_9
.LBB4_8:                                ;   in Loop: Header=BB4_9 Depth=3
	s_delay_alu instid0(VALU_DEP_2) | instskip(SKIP_1) | instid1(VALU_DEP_2)
	v_add_nc_u64_e32 v[20:21], s[24:25], v[20:21]
	v_add_nc_u64_e32 v[16:17], s[26:27], v[16:17]
	v_cmp_le_i64_e32 vcc_lo, s[8:9], v[20:21]
	s_or_b32 s34, vcc_lo, s34
	s_wait_xcnt 0x0
	s_and_not1_b32 exec_lo, exec_lo, s34
	s_cbranch_execz .LBB4_5
.LBB4_9:                                ;   Parent Loop BB4_3 Depth=1
                                        ;     Parent Loop BB4_6 Depth=2
                                        ; =>    This Loop Header: Depth=3
                                        ;         Child Loop BB4_11 Depth 4
	s_and_not1_b32 vcc_lo, exec_lo, s29
	s_cbranch_vccnz .LBB4_8
; %bb.10:                               ;   in Loop: Header=BB4_9 Depth=3
	s_delay_alu instid0(VALU_DEP_1)
	v_lshl_add_u64 v[22:23], v[20:21], 3, v[18:19]
	v_mov_b64_e32 v[26:27], v[10:11]
	v_mov_b64_e32 v[28:29], v[16:17]
	s_mov_b32 s35, s28
	global_load_b64 v[24:25], v[22:23], off
.LBB4_11:                               ;   Parent Loop BB4_3 Depth=1
                                        ;     Parent Loop BB4_6 Depth=2
                                        ;       Parent Loop BB4_9 Depth=3
                                        ; =>      This Inner Loop Header: Depth=4
	global_load_b64 v[30:31], v[28:29], off
	global_load_b64 v[32:33], v[26:27], off
	s_wait_xcnt 0x1
	v_add_nc_u64_e32 v[28:29], 8, v[28:29]
	s_wait_xcnt 0x0
	v_add_nc_u64_e32 v[26:27], 8, v[26:27]
	s_add_co_i32 s35, s35, -1
	s_delay_alu instid0(SALU_CYCLE_1)
	s_cmp_lg_u32 s35, 0
	s_wait_loadcnt 0x0
	v_fmac_f64_e32 v[24:25], v[30:31], v[32:33]
	global_store_b64 v[22:23], v[24:25], off
	s_cbranch_scc1 .LBB4_11
	s_branch .LBB4_8
.LBB4_12:
	s_endpgm
	.section	.rodata,"a",@progbits
	.p2align	6, 0x0
	.amdhsa_kernel _ZN4RAJA34launch_new_reduce_global_fcn_fixedIZN8rajaperf4apps13LTIMES_NOVIEW17runHipVariantImplILm256ELm1EEEvNS1_9VariantIDEEUlNS_14LaunchContextTINS_3hip33LaunchContextIndicesAndDimsPolicyINS7_14IndicesAndDimsILb0ELb0ELb0ELb0EEEEEEEE_Li256ENS_4expt15ForallParamPackIJEEEEEvT_T1_
		.amdhsa_group_segment_fixed_size 0
		.amdhsa_private_segment_fixed_size 0
		.amdhsa_kernarg_size 320
		.amdhsa_user_sgpr_count 2
		.amdhsa_user_sgpr_dispatch_ptr 0
		.amdhsa_user_sgpr_queue_ptr 0
		.amdhsa_user_sgpr_kernarg_segment_ptr 1
		.amdhsa_user_sgpr_dispatch_id 0
		.amdhsa_user_sgpr_kernarg_preload_length 0
		.amdhsa_user_sgpr_kernarg_preload_offset 0
		.amdhsa_user_sgpr_private_segment_size 0
		.amdhsa_wavefront_size32 1
		.amdhsa_uses_dynamic_stack 0
		.amdhsa_enable_private_segment 0
		.amdhsa_system_sgpr_workgroup_id_x 1
		.amdhsa_system_sgpr_workgroup_id_y 1
		.amdhsa_system_sgpr_workgroup_id_z 1
		.amdhsa_system_sgpr_workgroup_info 0
		.amdhsa_system_vgpr_workitem_id 2
		.amdhsa_next_free_vgpr 34
		.amdhsa_next_free_sgpr 36
		.amdhsa_named_barrier_count 0
		.amdhsa_reserve_vcc 1
		.amdhsa_float_round_mode_32 0
		.amdhsa_float_round_mode_16_64 0
		.amdhsa_float_denorm_mode_32 3
		.amdhsa_float_denorm_mode_16_64 3
		.amdhsa_fp16_overflow 0
		.amdhsa_memory_ordered 1
		.amdhsa_forward_progress 1
		.amdhsa_inst_pref_size 6
		.amdhsa_round_robin_scheduling 0
		.amdhsa_exception_fp_ieee_invalid_op 0
		.amdhsa_exception_fp_denorm_src 0
		.amdhsa_exception_fp_ieee_div_zero 0
		.amdhsa_exception_fp_ieee_overflow 0
		.amdhsa_exception_fp_ieee_underflow 0
		.amdhsa_exception_fp_ieee_inexact 0
		.amdhsa_exception_int_div_zero 0
	.end_amdhsa_kernel
	.section	.text._ZN4RAJA34launch_new_reduce_global_fcn_fixedIZN8rajaperf4apps13LTIMES_NOVIEW17runHipVariantImplILm256ELm1EEEvNS1_9VariantIDEEUlNS_14LaunchContextTINS_3hip33LaunchContextIndicesAndDimsPolicyINS7_14IndicesAndDimsILb0ELb0ELb0ELb0EEEEEEEE_Li256ENS_4expt15ForallParamPackIJEEEEEvT_T1_,"axG",@progbits,_ZN4RAJA34launch_new_reduce_global_fcn_fixedIZN8rajaperf4apps13LTIMES_NOVIEW17runHipVariantImplILm256ELm1EEEvNS1_9VariantIDEEUlNS_14LaunchContextTINS_3hip33LaunchContextIndicesAndDimsPolicyINS7_14IndicesAndDimsILb0ELb0ELb0ELb0EEEEEEEE_Li256ENS_4expt15ForallParamPackIJEEEEEvT_T1_,comdat
.Lfunc_end4:
	.size	_ZN4RAJA34launch_new_reduce_global_fcn_fixedIZN8rajaperf4apps13LTIMES_NOVIEW17runHipVariantImplILm256ELm1EEEvNS1_9VariantIDEEUlNS_14LaunchContextTINS_3hip33LaunchContextIndicesAndDimsPolicyINS7_14IndicesAndDimsILb0ELb0ELb0ELb0EEEEEEEE_Li256ENS_4expt15ForallParamPackIJEEEEEvT_T1_, .Lfunc_end4-_ZN4RAJA34launch_new_reduce_global_fcn_fixedIZN8rajaperf4apps13LTIMES_NOVIEW17runHipVariantImplILm256ELm1EEEvNS1_9VariantIDEEUlNS_14LaunchContextTINS_3hip33LaunchContextIndicesAndDimsPolicyINS7_14IndicesAndDimsILb0ELb0ELb0ELb0EEEEEEEE_Li256ENS_4expt15ForallParamPackIJEEEEEvT_T1_
                                        ; -- End function
	.set _ZN4RAJA34launch_new_reduce_global_fcn_fixedIZN8rajaperf4apps13LTIMES_NOVIEW17runHipVariantImplILm256ELm1EEEvNS1_9VariantIDEEUlNS_14LaunchContextTINS_3hip33LaunchContextIndicesAndDimsPolicyINS7_14IndicesAndDimsILb0ELb0ELb0ELb0EEEEEEEE_Li256ENS_4expt15ForallParamPackIJEEEEEvT_T1_.num_vgpr, 34
	.set _ZN4RAJA34launch_new_reduce_global_fcn_fixedIZN8rajaperf4apps13LTIMES_NOVIEW17runHipVariantImplILm256ELm1EEEvNS1_9VariantIDEEUlNS_14LaunchContextTINS_3hip33LaunchContextIndicesAndDimsPolicyINS7_14IndicesAndDimsILb0ELb0ELb0ELb0EEEEEEEE_Li256ENS_4expt15ForallParamPackIJEEEEEvT_T1_.num_agpr, 0
	.set _ZN4RAJA34launch_new_reduce_global_fcn_fixedIZN8rajaperf4apps13LTIMES_NOVIEW17runHipVariantImplILm256ELm1EEEvNS1_9VariantIDEEUlNS_14LaunchContextTINS_3hip33LaunchContextIndicesAndDimsPolicyINS7_14IndicesAndDimsILb0ELb0ELb0ELb0EEEEEEEE_Li256ENS_4expt15ForallParamPackIJEEEEEvT_T1_.numbered_sgpr, 36
	.set _ZN4RAJA34launch_new_reduce_global_fcn_fixedIZN8rajaperf4apps13LTIMES_NOVIEW17runHipVariantImplILm256ELm1EEEvNS1_9VariantIDEEUlNS_14LaunchContextTINS_3hip33LaunchContextIndicesAndDimsPolicyINS7_14IndicesAndDimsILb0ELb0ELb0ELb0EEEEEEEE_Li256ENS_4expt15ForallParamPackIJEEEEEvT_T1_.num_named_barrier, 0
	.set _ZN4RAJA34launch_new_reduce_global_fcn_fixedIZN8rajaperf4apps13LTIMES_NOVIEW17runHipVariantImplILm256ELm1EEEvNS1_9VariantIDEEUlNS_14LaunchContextTINS_3hip33LaunchContextIndicesAndDimsPolicyINS7_14IndicesAndDimsILb0ELb0ELb0ELb0EEEEEEEE_Li256ENS_4expt15ForallParamPackIJEEEEEvT_T1_.private_seg_size, 0
	.set _ZN4RAJA34launch_new_reduce_global_fcn_fixedIZN8rajaperf4apps13LTIMES_NOVIEW17runHipVariantImplILm256ELm1EEEvNS1_9VariantIDEEUlNS_14LaunchContextTINS_3hip33LaunchContextIndicesAndDimsPolicyINS7_14IndicesAndDimsILb0ELb0ELb0ELb0EEEEEEEE_Li256ENS_4expt15ForallParamPackIJEEEEEvT_T1_.uses_vcc, 1
	.set _ZN4RAJA34launch_new_reduce_global_fcn_fixedIZN8rajaperf4apps13LTIMES_NOVIEW17runHipVariantImplILm256ELm1EEEvNS1_9VariantIDEEUlNS_14LaunchContextTINS_3hip33LaunchContextIndicesAndDimsPolicyINS7_14IndicesAndDimsILb0ELb0ELb0ELb0EEEEEEEE_Li256ENS_4expt15ForallParamPackIJEEEEEvT_T1_.uses_flat_scratch, 0
	.set _ZN4RAJA34launch_new_reduce_global_fcn_fixedIZN8rajaperf4apps13LTIMES_NOVIEW17runHipVariantImplILm256ELm1EEEvNS1_9VariantIDEEUlNS_14LaunchContextTINS_3hip33LaunchContextIndicesAndDimsPolicyINS7_14IndicesAndDimsILb0ELb0ELb0ELb0EEEEEEEE_Li256ENS_4expt15ForallParamPackIJEEEEEvT_T1_.has_dyn_sized_stack, 0
	.set _ZN4RAJA34launch_new_reduce_global_fcn_fixedIZN8rajaperf4apps13LTIMES_NOVIEW17runHipVariantImplILm256ELm1EEEvNS1_9VariantIDEEUlNS_14LaunchContextTINS_3hip33LaunchContextIndicesAndDimsPolicyINS7_14IndicesAndDimsILb0ELb0ELb0ELb0EEEEEEEE_Li256ENS_4expt15ForallParamPackIJEEEEEvT_T1_.has_recursion, 0
	.set _ZN4RAJA34launch_new_reduce_global_fcn_fixedIZN8rajaperf4apps13LTIMES_NOVIEW17runHipVariantImplILm256ELm1EEEvNS1_9VariantIDEEUlNS_14LaunchContextTINS_3hip33LaunchContextIndicesAndDimsPolicyINS7_14IndicesAndDimsILb0ELb0ELb0ELb0EEEEEEEE_Li256ENS_4expt15ForallParamPackIJEEEEEvT_T1_.has_indirect_call, 0
	.section	.AMDGPU.csdata,"",@progbits
; Kernel info:
; codeLenInByte = 756
; TotalNumSgprs: 38
; NumVgprs: 34
; ScratchSize: 0
; MemoryBound: 0
; FloatMode: 240
; IeeeMode: 1
; LDSByteSize: 0 bytes/workgroup (compile time only)
; SGPRBlocks: 0
; VGPRBlocks: 2
; NumSGPRsForWavesPerEU: 38
; NumVGPRsForWavesPerEU: 34
; NamedBarCnt: 0
; Occupancy: 16
; WaveLimiterHint : 0
; COMPUTE_PGM_RSRC2:SCRATCH_EN: 0
; COMPUTE_PGM_RSRC2:USER_SGPR: 2
; COMPUTE_PGM_RSRC2:TRAP_HANDLER: 0
; COMPUTE_PGM_RSRC2:TGID_X_EN: 1
; COMPUTE_PGM_RSRC2:TGID_Y_EN: 1
; COMPUTE_PGM_RSRC2:TGID_Z_EN: 1
; COMPUTE_PGM_RSRC2:TIDIG_COMP_CNT: 2
	.section	.AMDGPU.gpr_maximums,"",@progbits
	.set amdgpu.max_num_vgpr, 0
	.set amdgpu.max_num_agpr, 0
	.set amdgpu.max_num_sgpr, 0
	.section	.AMDGPU.csdata,"",@progbits
	.type	__hip_cuid_3f07464e00dad6d2,@object ; @__hip_cuid_3f07464e00dad6d2
	.section	.bss,"aw",@nobits
	.globl	__hip_cuid_3f07464e00dad6d2
__hip_cuid_3f07464e00dad6d2:
	.byte	0                               ; 0x0
	.size	__hip_cuid_3f07464e00dad6d2, 1

	.ident	"AMD clang version 22.0.0git (https://github.com/RadeonOpenCompute/llvm-project roc-7.2.4 26084 f58b06dce1f9c15707c5f808fd002e18c2accf7e)"
	.section	".note.GNU-stack","",@progbits
	.addrsig
	.addrsig_sym __hip_cuid_3f07464e00dad6d2
	.amdgpu_metadata
---
amdhsa.kernels:
  - .args:
      - .address_space:  global
        .offset:         0
        .size:           8
        .value_kind:     global_buffer
      - .address_space:  global
        .offset:         8
        .size:           8
        .value_kind:     global_buffer
      - .address_space:  global
        .offset:         16
        .size:           8
        .value_kind:     global_buffer
      - .offset:         24
        .size:           8
        .value_kind:     by_value
      - .offset:         32
        .size:           8
        .value_kind:     by_value
      - .offset:         40
        .size:           8
        .value_kind:     by_value
      - .offset:         48
        .size:           8
        .value_kind:     by_value
    .group_segment_fixed_size: 0
    .kernarg_segment_align: 8
    .kernarg_segment_size: 56
    .language:       OpenCL C
    .language_version:
      - 2
      - 0
    .max_flat_workgroup_size: 256
    .name:           _ZN8rajaperf4apps13ltimes_noviewILm32ELm4ELm2EEEvPdS2_S2_llll
    .private_segment_fixed_size: 0
    .sgpr_count:     24
    .sgpr_spill_count: 0
    .symbol:         _ZN8rajaperf4apps13ltimes_noviewILm32ELm4ELm2EEEvPdS2_S2_llll.kd
    .uniform_work_group_size: 1
    .uses_dynamic_stack: false
    .vgpr_count:     12
    .vgpr_spill_count: 0
    .wavefront_size: 32
  - .args:
      - .offset:         0
        .size:           8
        .value_kind:     by_value
      - .offset:         8
        .size:           8
        .value_kind:     by_value
      - .offset:         16
        .size:           8
        .value_kind:     by_value
      - .offset:         24
        .size:           48
        .value_kind:     by_value
    .group_segment_fixed_size: 0
    .kernarg_segment_align: 8
    .kernarg_segment_size: 72
    .language:       OpenCL C
    .language_version:
      - 2
      - 0
    .max_flat_workgroup_size: 256
    .name:           _ZN8rajaperf4apps17ltimes_noview_lamILm32ELm4ELm2EZNS0_13LTIMES_NOVIEW17runHipVariantImplILm256ELm0EEEvNS_9VariantIDEEUllllE_EEvlllT2_
    .private_segment_fixed_size: 0
    .sgpr_count:     22
    .sgpr_spill_count: 0
    .symbol:         _ZN8rajaperf4apps17ltimes_noview_lamILm32ELm4ELm2EZNS0_13LTIMES_NOVIEW17runHipVariantImplILm256ELm0EEEvNS_9VariantIDEEUllllE_EEvlllT2_.kd
    .uniform_work_group_size: 1
    .uses_dynamic_stack: false
    .vgpr_count:     12
    .vgpr_spill_count: 0
    .wavefront_size: 32
  - .args:
      - .offset:         0
        .size:           184
        .value_kind:     by_value
    .group_segment_fixed_size: 0
    .kernarg_segment_align: 8
    .kernarg_segment_size: 184
    .language:       OpenCL C
    .language_version:
      - 2
      - 0
    .max_flat_workgroup_size: 256
    .name:           _ZN4RAJA8internal22HipKernelLauncherFixedILi256ENS0_8LoopDataIN4camp5tupleIJNS_4SpanINS_9Iterators16numeric_iteratorIllPlEElEESA_SA_SA_EEENS4_IJEEENS3_9resources2v13HipEJZN8rajaperf4apps13LTIMES_NOVIEW17runHipVariantImplILm256ELm0EEEvNSG_9VariantIDEEUlllllE_EEENS0_24HipStatementListExecutorISM_NS3_4listIJNS_9statement3ForILl1ENS_6policy3hip11hip_indexerINS_17iteration_mapping6DirectELNS_23kernel_sync_requirementE0EJNS_3hip11IndexGlobalILNS_9named_dimE2ELi2ELi0EEEEEEJNSQ_ILl2ENST_ISV_LSW_0EJNSY_ILSZ_1ELi4ELi0EEEEEEJNSQ_ILl3ENST_ISV_LSW_0EJNSY_ILSZ_0ELi32ELi0EEEEEEJNSQ_ILl0ENSR_10sequential8seq_execEJNSP_6LambdaILl0EJEEEEEEEEEEEEEEEEEENS0_9LoopTypesINSO_IJvvvvEEES1G_EEEEEEvT0_
    .private_segment_fixed_size: 0
    .sgpr_count:     38
    .sgpr_spill_count: 0
    .symbol:         _ZN4RAJA8internal22HipKernelLauncherFixedILi256ENS0_8LoopDataIN4camp5tupleIJNS_4SpanINS_9Iterators16numeric_iteratorIllPlEElEESA_SA_SA_EEENS4_IJEEENS3_9resources2v13HipEJZN8rajaperf4apps13LTIMES_NOVIEW17runHipVariantImplILm256ELm0EEEvNSG_9VariantIDEEUlllllE_EEENS0_24HipStatementListExecutorISM_NS3_4listIJNS_9statement3ForILl1ENS_6policy3hip11hip_indexerINS_17iteration_mapping6DirectELNS_23kernel_sync_requirementE0EJNS_3hip11IndexGlobalILNS_9named_dimE2ELi2ELi0EEEEEEJNSQ_ILl2ENST_ISV_LSW_0EJNSY_ILSZ_1ELi4ELi0EEEEEEJNSQ_ILl3ENST_ISV_LSW_0EJNSY_ILSZ_0ELi32ELi0EEEEEEJNSQ_ILl0ENSR_10sequential8seq_execEJNSP_6LambdaILl0EJEEEEEEEEEEEEEEEEEENS0_9LoopTypesINSO_IJvvvvEEES1G_EEEEEEvT0_.kd
    .uniform_work_group_size: 1
    .uses_dynamic_stack: false
    .vgpr_count:     20
    .vgpr_spill_count: 0
    .wavefront_size: 32
  - .args:
      - .offset:         0
        .size:           8
        .value_kind:     by_value
      - .offset:         8
        .size:           8
        .value_kind:     by_value
      - .offset:         16
        .size:           8
        .value_kind:     by_value
      - .offset:         24
        .size:           48
        .value_kind:     by_value
    .group_segment_fixed_size: 0
    .kernarg_segment_align: 8
    .kernarg_segment_size: 72
    .language:       OpenCL C
    .language_version:
      - 2
      - 0
    .max_flat_workgroup_size: 256
    .name:           _ZN8rajaperf4apps17ltimes_noview_lamILm32ELm4ELm2EZNS0_13LTIMES_NOVIEW17runHipVariantImplILm256ELm1EEEvNS_9VariantIDEEUllllE_EEvlllT2_
    .private_segment_fixed_size: 0
    .sgpr_count:     22
    .sgpr_spill_count: 0
    .symbol:         _ZN8rajaperf4apps17ltimes_noview_lamILm32ELm4ELm2EZNS0_13LTIMES_NOVIEW17runHipVariantImplILm256ELm1EEEvNS_9VariantIDEEUllllE_EEvlllT2_.kd
    .uniform_work_group_size: 1
    .uses_dynamic_stack: false
    .vgpr_count:     12
    .vgpr_spill_count: 0
    .wavefront_size: 32
  - .args:
      - .offset:         0
        .size:           56
        .value_kind:     by_value
      - .offset:         56
        .size:           1
        .value_kind:     by_value
      - .offset:         64
        .size:           4
        .value_kind:     hidden_block_count_x
      - .offset:         68
        .size:           4
        .value_kind:     hidden_block_count_y
      - .offset:         72
        .size:           4
        .value_kind:     hidden_block_count_z
      - .offset:         76
        .size:           2
        .value_kind:     hidden_group_size_x
      - .offset:         78
        .size:           2
        .value_kind:     hidden_group_size_y
      - .offset:         80
        .size:           2
        .value_kind:     hidden_group_size_z
      - .offset:         82
        .size:           2
        .value_kind:     hidden_remainder_x
      - .offset:         84
        .size:           2
        .value_kind:     hidden_remainder_y
      - .offset:         86
        .size:           2
        .value_kind:     hidden_remainder_z
      - .offset:         104
        .size:           8
        .value_kind:     hidden_global_offset_x
      - .offset:         112
        .size:           8
        .value_kind:     hidden_global_offset_y
      - .offset:         120
        .size:           8
        .value_kind:     hidden_global_offset_z
      - .offset:         128
        .size:           2
        .value_kind:     hidden_grid_dims
    .group_segment_fixed_size: 0
    .kernarg_segment_align: 8
    .kernarg_segment_size: 320
    .language:       OpenCL C
    .language_version:
      - 2
      - 0
    .max_flat_workgroup_size: 256
    .name:           _ZN4RAJA34launch_new_reduce_global_fcn_fixedIZN8rajaperf4apps13LTIMES_NOVIEW17runHipVariantImplILm256ELm1EEEvNS1_9VariantIDEEUlNS_14LaunchContextTINS_3hip33LaunchContextIndicesAndDimsPolicyINS7_14IndicesAndDimsILb0ELb0ELb0ELb0EEEEEEEE_Li256ENS_4expt15ForallParamPackIJEEEEEvT_T1_
    .private_segment_fixed_size: 0
    .sgpr_count:     38
    .sgpr_spill_count: 0
    .symbol:         _ZN4RAJA34launch_new_reduce_global_fcn_fixedIZN8rajaperf4apps13LTIMES_NOVIEW17runHipVariantImplILm256ELm1EEEvNS1_9VariantIDEEUlNS_14LaunchContextTINS_3hip33LaunchContextIndicesAndDimsPolicyINS7_14IndicesAndDimsILb0ELb0ELb0ELb0EEEEEEEE_Li256ENS_4expt15ForallParamPackIJEEEEEvT_T1_.kd
    .uniform_work_group_size: 1
    .uses_dynamic_stack: false
    .vgpr_count:     34
    .vgpr_spill_count: 0
    .wavefront_size: 32
amdhsa.target:   amdgcn-amd-amdhsa--gfx1250
amdhsa.version:
  - 1
  - 2
...

	.end_amdgpu_metadata
